;; amdgpu-corpus repo=ROCm/rocFFT kind=compiled arch=gfx1201 opt=O3
	.text
	.amdgcn_target "amdgcn-amd-amdhsa--gfx1201"
	.amdhsa_code_object_version 6
	.protected	bluestein_single_back_len1701_dim1_dp_op_CI_CI ; -- Begin function bluestein_single_back_len1701_dim1_dp_op_CI_CI
	.globl	bluestein_single_back_len1701_dim1_dp_op_CI_CI
	.p2align	8
	.type	bluestein_single_back_len1701_dim1_dp_op_CI_CI,@function
bluestein_single_back_len1701_dim1_dp_op_CI_CI: ; @bluestein_single_back_len1701_dim1_dp_op_CI_CI
; %bb.0:
	s_load_b128 s[16:19], s[0:1], 0x28
	v_mul_u32_u24_e32 v1, 0x411, v0
	s_mov_b32 s2, exec_lo
	v_mov_b32_e32 v5, 0
	s_delay_alu instid0(VALU_DEP_2) | instskip(NEXT) | instid1(VALU_DEP_1)
	v_lshrrev_b32_e32 v1, 16, v1
	v_add_nc_u32_e32 v4, ttmp9, v1
	s_wait_kmcnt 0x0
	s_delay_alu instid0(VALU_DEP_1)
	v_cmpx_gt_u64_e64 s[16:17], v[4:5]
	s_cbranch_execz .LBB0_10
; %bb.1:
	s_clause 0x1
	s_load_b128 s[4:7], s[0:1], 0x18
	s_load_b128 s[8:11], s[0:1], 0x0
	v_mul_lo_u16 v1, v1, 63
	s_delay_alu instid0(VALU_DEP_1) | instskip(NEXT) | instid1(VALU_DEP_1)
	v_sub_nc_u16 v142, v0, v1
	v_and_b32_e32 v141, 0xffff, v142
	s_delay_alu instid0(VALU_DEP_1)
	v_dual_mov_b32 v5, v4 :: v_dual_lshlrev_b32 v140, 4, v141
	scratch_store_b64 off, v[5:6], off offset:16 ; 8-byte Folded Spill
	s_wait_kmcnt 0x0
	s_load_b128 s[12:15], s[4:5], 0x0
	s_movk_i32 s4, 0xbd10
	global_load_b128 v[60:63], v140, s[8:9]
	s_mov_b32 s5, -1
	s_wait_kmcnt 0x0
	v_mad_co_u64_u32 v[0:1], null, s14, v4, 0
	v_mad_co_u64_u32 v[2:3], null, s12, v141, 0
	s_mul_u64 s[2:3], s[12:13], 0x2370
	s_mul_u64 s[4:5], s[12:13], s[4:5]
	s_delay_alu instid0(VALU_DEP_1) | instskip(NEXT) | instid1(VALU_DEP_1)
	v_mad_co_u64_u32 v[4:5], null, s15, v4, v[1:2]
	v_mad_co_u64_u32 v[5:6], null, s13, v141, v[3:4]
	v_mov_b32_e32 v1, v4
	s_mov_b32 s13, 0xbfebb67a
	s_delay_alu instid0(VALU_DEP_1) | instskip(NEXT) | instid1(VALU_DEP_3)
	v_lshlrev_b64_e32 v[0:1], 4, v[0:1]
	v_mov_b32_e32 v3, v5
	s_delay_alu instid0(VALU_DEP_2) | instskip(NEXT) | instid1(VALU_DEP_2)
	v_add_co_u32 v0, vcc_lo, s18, v0
	v_lshlrev_b64_e32 v[2:3], 4, v[2:3]
	s_delay_alu instid0(VALU_DEP_4) | instskip(NEXT) | instid1(VALU_DEP_2)
	v_add_co_ci_u32_e32 v1, vcc_lo, s19, v1, vcc_lo
	v_add_co_u32 v0, vcc_lo, v0, v2
	s_wait_alu 0xfffd
	s_delay_alu instid0(VALU_DEP_2) | instskip(NEXT) | instid1(VALU_DEP_2)
	v_add_co_ci_u32_e32 v1, vcc_lo, v1, v3, vcc_lo
	v_add_co_u32 v2, vcc_lo, v0, s2
	global_load_b128 v[8:11], v[0:1], off
	s_wait_alu 0xfffd
	v_add_co_ci_u32_e32 v3, vcc_lo, s3, v1, vcc_lo
	v_add_co_u32 v12, vcc_lo, v2, s2
	s_wait_alu 0xfffd
	s_delay_alu instid0(VALU_DEP_2)
	v_add_co_ci_u32_e32 v13, vcc_lo, s3, v3, vcc_lo
	global_load_b128 v[64:67], v140, s[8:9] offset:9072
	global_load_b128 v[4:7], v[2:3], off
	global_load_b128 v[68:71], v140, s[8:9] offset:18144
	global_load_b128 v[0:3], v[12:13], off
	v_add_co_u32 v16, vcc_lo, v12, s4
	s_wait_alu 0xfffd
	v_add_co_ci_u32_e32 v17, vcc_lo, s5, v13, vcc_lo
	global_load_b128 v[72:75], v140, s[8:9] offset:1008
	global_load_b128 v[12:15], v[16:17], off
	v_add_co_u32 v16, vcc_lo, v16, s2
	s_wait_alu 0xfffd
	v_add_co_ci_u32_e32 v17, vcc_lo, s3, v17, vcc_lo
	;; [unrolled: 5-line block ×8, first 2 shown]
	global_load_b128 v[100:103], v140, s[8:9] offset:12096
	v_add_co_u32 v58, vcc_lo, v44, s2
	global_load_b128 v[40:43], v[44:45], off
	s_wait_alu 0xfffd
	v_add_co_ci_u32_e32 v59, vcc_lo, s3, v45, vcc_lo
	s_wait_loadcnt 0x15
	scratch_store_b128 off, v[60:63], off offset:24 ; 16-byte Folded Spill
	s_wait_loadcnt 0x14
	v_mul_f64_e32 v[46:47], v[10:11], v[62:63]
	v_mul_f64_e32 v[48:49], v[8:9], v[62:63]
	s_wait_loadcnt 0x13
	scratch_store_b128 off, v[64:67], off offset:40 ; 16-byte Folded Spill
	s_wait_loadcnt 0x12
	v_mul_f64_e32 v[50:51], v[6:7], v[66:67]
	v_mul_f64_e32 v[52:53], v[4:5], v[66:67]
	;; [unrolled: 5-line block ×3, first 2 shown]
	s_wait_loadcnt 0xf
	scratch_store_b128 off, v[72:75], off offset:72 ; 16-byte Folded Spill
	s_wait_loadcnt 0xd
	scratch_store_b128 off, v[76:79], off offset:88 ; 16-byte Folded Spill
	;; [unrolled: 2-line block ×4, first 2 shown]
	v_fma_f64 v[8:9], v[8:9], v[60:61], v[46:47]
	v_fma_f64 v[10:11], v[10:11], v[60:61], -v[48:49]
	global_load_b128 v[60:63], v140, s[8:9] offset:21168
	global_load_b128 v[44:47], v[58:59], off
	v_mul_f64_e32 v[48:49], v[14:15], v[74:75]
	s_wait_loadcnt 0x9
	scratch_store_b128 off, v[96:99], off offset:168 ; 16-byte Folded Spill
	v_fma_f64 v[4:5], v[4:5], v[64:65], v[50:51]
	v_mul_f64_e32 v[50:51], v[12:13], v[74:75]
	v_fma_f64 v[6:7], v[6:7], v[64:65], -v[52:53]
	v_add_co_u32 v52, vcc_lo, v58, s4
	s_wait_alu 0xfffd
	v_add_co_ci_u32_e32 v53, vcc_lo, s5, v59, vcc_lo
	s_wait_loadcnt 0x7
	scratch_store_b128 off, v[88:91], off offset:136 ; 16-byte Folded Spill
	v_fma_f64 v[2:3], v[2:3], v[68:69], -v[56:57]
	v_fma_f64 v[0:1], v[0:1], v[68:69], v[54:55]
	s_wait_loadcnt 0x5
	scratch_store_b128 off, v[92:95], off offset:152 ; 16-byte Folded Spill
	s_wait_loadcnt 0x3
	scratch_store_b128 off, v[100:103], off offset:264 ; 16-byte Folded Spill
	v_fma_f64 v[12:13], v[12:13], v[72:73], v[48:49]
	v_mul_f64_e32 v[48:49], v[22:23], v[78:79]
	v_fma_f64 v[14:15], v[14:15], v[72:73], -v[50:51]
	v_mul_f64_e32 v[50:51], v[20:21], v[78:79]
	s_delay_alu instid0(VALU_DEP_3) | instskip(SKIP_1) | instid1(VALU_DEP_3)
	v_fma_f64 v[20:21], v[20:21], v[76:77], v[48:49]
	v_mul_f64_e32 v[48:49], v[18:19], v[86:87]
	v_fma_f64 v[22:23], v[22:23], v[76:77], -v[50:51]
	v_mul_f64_e32 v[50:51], v[16:17], v[86:87]
	s_delay_alu instid0(VALU_DEP_3) | instskip(SKIP_1) | instid1(VALU_DEP_3)
	;; [unrolled: 5-line block ×5, first 2 shown]
	v_fma_f64 v[32:33], v[32:33], v[88:89], v[48:49]
	v_mul_f64_e32 v[48:49], v[38:39], v[94:95]
	v_fma_f64 v[34:35], v[34:35], v[88:89], -v[50:51]
	v_mul_f64_e32 v[50:51], v[36:37], v[94:95]
	s_delay_alu instid0(VALU_DEP_3) | instskip(SKIP_2) | instid1(VALU_DEP_3)
	v_fma_f64 v[36:37], v[36:37], v[92:93], v[48:49]
	s_wait_loadcnt 0x2
	v_mul_f64_e32 v[48:49], v[42:43], v[102:103]
	v_fma_f64 v[38:39], v[38:39], v[92:93], -v[50:51]
	v_mul_f64_e32 v[50:51], v[40:41], v[102:103]
	s_delay_alu instid0(VALU_DEP_3) | instskip(NEXT) | instid1(VALU_DEP_2)
	v_fma_f64 v[40:41], v[40:41], v[100:101], v[48:49]
	v_fma_f64 v[42:43], v[42:43], v[100:101], -v[50:51]
	s_wait_loadcnt 0x1
	scratch_store_b128 off, v[60:63], off offset:296 ; 16-byte Folded Spill
	s_wait_loadcnt 0x0
	v_mul_f64_e32 v[48:49], v[46:47], v[62:63]
	v_mul_f64_e32 v[50:51], v[44:45], v[62:63]
	s_delay_alu instid0(VALU_DEP_2) | instskip(NEXT) | instid1(VALU_DEP_2)
	v_fma_f64 v[44:45], v[44:45], v[60:61], v[48:49]
	v_fma_f64 v[46:47], v[46:47], v[60:61], -v[50:51]
	global_load_b128 v[58:61], v140, s[8:9] offset:4032
	global_load_b128 v[48:51], v[52:53], off
	s_wait_loadcnt 0x1
	scratch_store_b128 off, v[58:61], off offset:392 ; 16-byte Folded Spill
	s_wait_loadcnt 0x0
	v_mul_f64_e32 v[56:57], v[48:49], v[60:61]
	v_mul_f64_e32 v[54:55], v[50:51], v[60:61]
	s_delay_alu instid0(VALU_DEP_2) | instskip(SKIP_3) | instid1(VALU_DEP_4)
	v_fma_f64 v[50:51], v[50:51], v[58:59], -v[56:57]
	v_add_co_u32 v56, vcc_lo, v52, s2
	s_wait_alu 0xfffd
	v_add_co_ci_u32_e32 v57, vcc_lo, s3, v53, vcc_lo
	v_fma_f64 v[48:49], v[48:49], v[58:59], v[54:55]
	global_load_b128 v[62:65], v140, s[8:9] offset:13104
	global_load_b128 v[52:55], v[56:57], off
	s_wait_loadcnt 0x1
	scratch_store_b128 off, v[62:65], off offset:408 ; 16-byte Folded Spill
	s_wait_loadcnt 0x0
	v_mul_f64_e32 v[60:61], v[52:53], v[64:65]
	v_mul_f64_e32 v[58:59], v[54:55], v[64:65]
	s_delay_alu instid0(VALU_DEP_2) | instskip(SKIP_3) | instid1(VALU_DEP_4)
	v_fma_f64 v[54:55], v[54:55], v[62:63], -v[60:61]
	v_add_co_u32 v60, vcc_lo, v56, s2
	s_wait_alu 0xfffd
	v_add_co_ci_u32_e32 v61, vcc_lo, s3, v57, vcc_lo
	v_fma_f64 v[52:53], v[52:53], v[62:63], v[58:59]
	;; [unrolled: 13-line block ×13, first 2 shown]
	global_load_b128 v[110:113], v140, s[8:9] offset:17136
	global_load_b128 v[100:103], v[104:105], off
	v_add_co_u32 v104, vcc_lo, v104, s2
	s_wait_alu 0xfffd
	v_add_co_ci_u32_e32 v105, vcc_lo, s3, v105, vcc_lo
	s_mov_b32 s2, 0xe8584caa
	s_mov_b32 s3, 0x3febb67a
	s_wait_alu 0xfffe
	s_mov_b32 s12, s2
	v_cmp_gt_u16_e64 vcc_lo, 18, v142
	s_wait_loadcnt 0x1
	scratch_store_b128 off, v[110:113], off offset:360 ; 16-byte Folded Spill
	s_wait_loadcnt 0x0
	v_mul_f64_e32 v[106:107], v[102:103], v[112:113]
	v_mul_f64_e32 v[108:109], v[100:101], v[112:113]
	s_delay_alu instid0(VALU_DEP_2)
	v_fma_f64 v[100:101], v[100:101], v[110:111], v[106:107]
	global_load_b128 v[104:107], v[104:105], off
	global_load_b128 v[112:115], v140, s[8:9] offset:26208
	v_fma_f64 v[102:103], v[102:103], v[110:111], -v[108:109]
	s_wait_loadcnt 0x0
	v_mul_f64_e32 v[108:109], v[106:107], v[114:115]
	v_mul_f64_e32 v[110:111], v[104:105], v[114:115]
	scratch_store_b128 off, v[112:115], off offset:376 ; 16-byte Folded Spill
	v_fma_f64 v[104:105], v[104:105], v[112:113], v[108:109]
	v_fma_f64 v[106:107], v[106:107], v[112:113], -v[110:111]
	ds_store_b128 v140, v[8:11]
	ds_store_b128 v140, v[4:7] offset:9072
	ds_store_b128 v140, v[0:3] offset:18144
	;; [unrolled: 1-line block ×26, first 2 shown]
	s_load_b128 s[4:7], s[6:7], 0x0
	global_wb scope:SCOPE_SE
	s_wait_storecnt_dscnt 0x0
	s_wait_kmcnt 0x0
	s_barrier_signal -1
	s_barrier_wait -1
	global_inv scope:SCOPE_SE
	ds_load_b128 v[4:7], v140 offset:9072
	ds_load_b128 v[0:3], v140
	ds_load_b128 v[8:11], v140 offset:18144
	s_wait_dscnt 0x1
	v_add_f64_e32 v[12:13], v[0:1], v[4:5]
	v_add_f64_e32 v[14:15], v[2:3], v[6:7]
	s_wait_dscnt 0x0
	v_add_f64_e32 v[76:77], v[4:5], v[8:9]
	v_add_f64_e64 v[72:73], v[6:7], -v[10:11]
	v_add_f64_e32 v[78:79], v[6:7], v[10:11]
	v_add_f64_e64 v[74:75], v[4:5], -v[8:9]
	v_add_f64_e32 v[4:5], v[12:13], v[8:9]
	v_add_f64_e32 v[6:7], v[14:15], v[10:11]
	ds_load_b128 v[36:39], v140 offset:1008
	ds_load_b128 v[8:11], v140 offset:10080
	ds_load_b128 v[12:15], v140 offset:19152
	v_fma_f64 v[76:77], v[76:77], -0.5, v[0:1]
	v_fma_f64 v[78:79], v[78:79], -0.5, v[2:3]
	s_wait_dscnt 0x1
	v_add_f64_e32 v[16:17], v[36:37], v[8:9]
	v_add_f64_e32 v[18:19], v[38:39], v[10:11]
	s_wait_dscnt 0x0
	v_add_f64_e32 v[96:97], v[8:9], v[12:13]
	v_add_f64_e64 v[80:81], v[10:11], -v[14:15]
	v_add_f64_e32 v[98:99], v[10:11], v[14:15]
	v_add_f64_e64 v[82:83], v[8:9], -v[12:13]
	v_fma_f64 v[0:1], v[72:73], s[2:3], v[76:77]
	v_fma_f64 v[2:3], v[74:75], s[12:13], v[78:79]
	v_add_f64_e32 v[8:9], v[16:17], v[12:13]
	v_add_f64_e32 v[10:11], v[18:19], v[14:15]
	ds_load_b128 v[12:15], v140 offset:11088
	ds_load_b128 v[40:43], v140 offset:2016
	ds_load_b128 v[16:19], v140 offset:20160
	v_fma_f64 v[96:97], v[96:97], -0.5, v[36:37]
	v_fma_f64 v[98:99], v[98:99], -0.5, v[38:39]
	v_fma_f64 v[36:37], v[72:73], s[12:13], v[76:77]
	v_fma_f64 v[38:39], v[74:75], s[2:3], v[78:79]
	s_wait_dscnt 0x1
	v_add_f64_e32 v[20:21], v[40:41], v[12:13]
	v_add_f64_e32 v[22:23], v[42:43], v[14:15]
	s_wait_dscnt 0x0
	v_add_f64_e32 v[104:105], v[12:13], v[16:17]
	v_add_f64_e64 v[84:85], v[14:15], -v[18:19]
	v_add_f64_e32 v[106:107], v[14:15], v[18:19]
	v_add_f64_e64 v[86:87], v[12:13], -v[16:17]
	v_add_f64_e32 v[12:13], v[20:21], v[16:17]
	v_add_f64_e32 v[14:15], v[22:23], v[18:19]
	ds_load_b128 v[44:47], v140 offset:3024
	ds_load_b128 v[16:19], v140 offset:12096
	ds_load_b128 v[20:23], v140 offset:21168
	v_fma_f64 v[104:105], v[104:105], -0.5, v[40:41]
	v_fma_f64 v[106:107], v[106:107], -0.5, v[42:43]
	v_fma_f64 v[40:41], v[80:81], s[2:3], v[96:97]
	v_fma_f64 v[42:43], v[82:83], s[12:13], v[98:99]
	s_wait_dscnt 0x1
	v_add_f64_e32 v[24:25], v[44:45], v[16:17]
	v_add_f64_e32 v[26:27], v[46:47], v[18:19]
	s_wait_dscnt 0x0
	v_add_f64_e32 v[112:113], v[16:17], v[20:21]
	v_add_f64_e64 v[88:89], v[18:19], -v[22:23]
	v_add_f64_e32 v[114:115], v[18:19], v[22:23]
	v_add_f64_e64 v[90:91], v[16:17], -v[20:21]
	;; [unrolled: 17-line block ×4, first 2 shown]
	v_fma_f64 v[72:73], v[92:93], s[12:13], v[116:117]
	v_fma_f64 v[74:75], v[94:95], s[2:3], v[118:119]
	v_add_f64_e32 v[24:25], v[32:33], v[28:29]
	v_add_f64_e32 v[26:27], v[34:35], v[30:31]
	ds_load_b128 v[56:59], v140 offset:6048
	ds_load_b128 v[28:31], v140 offset:15120
	;; [unrolled: 1-line block ×3, first 2 shown]
	v_fma_f64 v[120:121], v[120:121], -0.5, v[52:53]
	v_fma_f64 v[122:123], v[122:123], -0.5, v[54:55]
	v_fma_f64 v[52:53], v[84:85], s[12:13], v[104:105]
	v_fma_f64 v[54:55], v[86:87], s[2:3], v[106:107]
	s_wait_dscnt 0x1
	v_add_f64_e32 v[60:61], v[56:57], v[28:29]
	v_add_f64_e32 v[62:63], v[58:59], v[30:31]
	s_wait_dscnt 0x0
	v_add_f64_e32 v[126:127], v[28:29], v[32:33]
	v_add_f64_e64 v[108:109], v[30:31], -v[34:35]
	v_add_f64_e32 v[130:131], v[30:31], v[34:35]
	v_add_f64_e64 v[110:111], v[28:29], -v[32:33]
	v_fma_f64 v[80:81], v[100:101], s[12:13], v[120:121]
	v_fma_f64 v[82:83], v[102:103], s[2:3], v[122:123]
	;; [unrolled: 1-line block ×4, first 2 shown]
	v_add_f64_e32 v[28:29], v[60:61], v[32:33]
	v_add_f64_e32 v[30:31], v[62:63], v[34:35]
	ds_load_b128 v[60:63], v140 offset:7056
	ds_load_b128 v[32:35], v140 offset:16128
	;; [unrolled: 1-line block ×3, first 2 shown]
	v_fma_f64 v[126:127], v[126:127], -0.5, v[56:57]
	v_fma_f64 v[56:57], v[88:89], s[2:3], v[112:113]
	v_fma_f64 v[130:131], v[130:131], -0.5, v[58:59]
	v_fma_f64 v[58:59], v[90:91], s[12:13], v[114:115]
	s_wait_dscnt 0x1
	v_add_f64_e32 v[68:69], v[60:61], v[32:33]
	v_add_f64_e32 v[70:71], v[62:63], v[34:35]
	s_wait_dscnt 0x0
	v_add_f64_e32 v[132:133], v[32:33], v[64:65]
	v_add_f64_e64 v[124:125], v[34:35], -v[66:67]
	v_add_f64_e32 v[134:135], v[34:35], v[66:67]
	v_add_f64_e64 v[128:129], v[32:33], -v[64:65]
	v_fma_f64 v[84:85], v[108:109], s[2:3], v[126:127]
	v_fma_f64 v[86:87], v[110:111], s[12:13], v[130:131]
	v_add_f64_e32 v[32:33], v[68:69], v[64:65]
	v_add_f64_e32 v[34:35], v[70:71], v[66:67]
	ds_load_b128 v[64:67], v140 offset:8064
	ds_load_b128 v[68:71], v140 offset:17136
	;; [unrolled: 1-line block ×3, first 2 shown]
	v_fma_f64 v[132:133], v[132:133], -0.5, v[60:61]
	v_fma_f64 v[60:61], v[88:89], s[12:13], v[112:113]
	v_fma_f64 v[88:89], v[108:109], s[12:13], v[126:127]
	v_mul_lo_u16 v108, v142, 3
	v_fma_f64 v[134:135], v[134:135], -0.5, v[62:63]
	v_fma_f64 v[62:63], v[90:91], s[2:3], v[114:115]
	global_wb scope:SCOPE_SE
	s_wait_dscnt 0x0
	s_barrier_signal -1
	v_and_b32_e32 v108, 0xffff, v108
	s_barrier_wait -1
	global_inv scope:SCOPE_SE
	v_fma_f64 v[90:91], v[110:111], s[2:3], v[130:131]
	v_lshlrev_b32_e32 v108, 4, v108
	ds_store_b128 v108, v[4:7]
	ds_store_b128 v108, v[0:3] offset:16
	v_add_f64_e32 v[143:144], v[64:65], v[68:69]
	v_add_f64_e32 v[145:146], v[66:67], v[70:71]
	;; [unrolled: 1-line block ×4, first 2 shown]
	v_add_co_u32 v6, s14, v141, 63
	v_add_f64_e64 v[151:152], v[70:71], -v[138:139]
	v_add_f64_e64 v[153:154], v[68:69], -v[136:137]
	v_add_co_u32 v5, null, 0x7e, v141
	s_delay_alu instid0(VALU_DEP_4)
	v_mul_u32_u24_e32 v0, 3, v6
	scratch_store_b32 off, v108, off offset:832 ; 4-byte Folded Spill
	ds_store_b128 v108, v[36:39] offset:32
	v_add_co_u32 v4, null, 0xfc, v141
	v_lshlrev_b32_e32 v0, 4, v0
	ds_store_b128 v0, v[8:11]
	ds_store_b128 v0, v[40:43] offset:16
	scratch_store_b32 off, v0, off offset:824 ; 4-byte Folded Spill
	ds_store_b128 v0, v[44:47] offset:32
	v_mul_u32_u24_e32 v0, 3, v5
	v_fma_f64 v[96:97], v[124:125], s[12:13], v[132:133]
	v_fma_f64 v[98:99], v[128:129], s[2:3], v[134:135]
	v_add_co_u32 v3, null, 0x13b, v141
	s_delay_alu instid0(VALU_DEP_4)
	v_lshlrev_b32_e32 v0, 4, v0
	ds_store_b128 v0, v[12:15]
	ds_store_b128 v0, v[48:51] offset:16
	scratch_store_b32 off, v0, off offset:800 ; 4-byte Folded Spill
	ds_store_b128 v0, v[52:55] offset:32
	v_add_co_u32 v2, null, 0x17a, v141
	v_add_f64_e32 v[68:69], v[143:144], v[136:137]
	v_add_f64_e32 v[70:71], v[145:146], v[138:139]
	v_fma_f64 v[136:137], v[147:148], -0.5, v[64:65]
	v_fma_f64 v[138:139], v[149:150], -0.5, v[66:67]
	v_fma_f64 v[64:65], v[92:93], s[2:3], v[116:117]
	v_fma_f64 v[66:67], v[94:95], s[12:13], v[118:119]
	v_add_co_u32 v143, null, 0xbd, v141
	v_fma_f64 v[92:93], v[124:125], s[2:3], v[132:133]
	v_fma_f64 v[94:95], v[128:129], s[12:13], v[134:135]
	v_add_co_u32 v1, null, 0x1b9, v141
	s_delay_alu instid0(VALU_DEP_4) | instskip(SKIP_1) | instid1(VALU_DEP_2)
	v_mul_u32_u24_e32 v0, 3, v143
	v_and_b32_e32 v14, 0xff, v142
	v_lshlrev_b32_e32 v0, 4, v0
	ds_store_b128 v0, v[16:19]
	ds_store_b128 v0, v[56:59] offset:16
	scratch_store_b32 off, v0, off offset:776 ; 4-byte Folded Spill
	ds_store_b128 v0, v[60:63] offset:32
	v_mul_u32_u24_e32 v0, 3, v4
	s_delay_alu instid0(VALU_DEP_1)
	v_lshlrev_b32_e32 v0, 4, v0
	ds_store_b128 v0, v[20:23]
	ds_store_b128 v0, v[64:67] offset:16
	scratch_store_b32 off, v0, off offset:748 ; 4-byte Folded Spill
	ds_store_b128 v0, v[72:75] offset:32
	v_mul_u32_u24_e32 v0, 3, v3
	v_fma_f64 v[104:105], v[151:152], s[12:13], v[136:137]
	v_fma_f64 v[106:107], v[153:154], s[2:3], v[138:139]
	;; [unrolled: 1-line block ×4, first 2 shown]
	v_lshlrev_b32_e32 v0, 4, v0
	ds_store_b128 v0, v[24:27]
	ds_store_b128 v0, v[76:79] offset:16
	scratch_store_b32 off, v0, off offset:724 ; 4-byte Folded Spill
	ds_store_b128 v0, v[80:83] offset:32
	v_mul_u32_u24_e32 v0, 3, v2
	s_delay_alu instid0(VALU_DEP_1)
	v_lshlrev_b32_e32 v0, 4, v0
	ds_store_b128 v0, v[28:31]
	ds_store_b128 v0, v[84:87] offset:16
	scratch_store_b32 off, v0, off offset:704 ; 4-byte Folded Spill
	ds_store_b128 v0, v[88:91] offset:32
	v_mul_u32_u24_e32 v0, 3, v1
	s_delay_alu instid0(VALU_DEP_1)
	v_lshlrev_b32_e32 v0, 4, v0
	ds_store_b128 v0, v[32:35]
	ds_store_b128 v0, v[92:95] offset:16
	scratch_store_b32 off, v0, off offset:684 ; 4-byte Folded Spill
	ds_store_b128 v0, v[96:99] offset:32
	v_add_co_u32 v0, null, 0x1f8, v141
	s_delay_alu instid0(VALU_DEP_1) | instskip(NEXT) | instid1(VALU_DEP_1)
	v_mul_u32_u24_e32 v7, 3, v0
	v_lshlrev_b32_e32 v7, 4, v7
	ds_store_b128 v7, v[68:71]
	ds_store_b128 v7, v[100:103] offset:16
	scratch_store_b32 off, v7, off offset:664 ; 4-byte Folded Spill
	ds_store_b128 v7, v[104:107] offset:32
	v_mul_lo_u16 v7, 0xab, v14
	global_wb scope:SCOPE_SE
	s_wait_storecnt_dscnt 0x0
	s_barrier_signal -1
	s_barrier_wait -1
	global_inv scope:SCOPE_SE
	v_lshrrev_b16 v20, 9, v7
	s_delay_alu instid0(VALU_DEP_1) | instskip(SKIP_1) | instid1(VALU_DEP_2)
	v_mul_lo_u16 v7, v20, 3
	v_and_b32_e32 v20, 0xffff, v20
	v_sub_nc_u16 v7, v142, v7
	s_delay_alu instid0(VALU_DEP_2) | instskip(NEXT) | instid1(VALU_DEP_2)
	v_mul_u32_u24_e32 v20, 9, v20
	v_and_b32_e32 v21, 0xff, v7
	ds_load_b128 v[7:10], v140 offset:9072
	v_lshlrev_b32_e32 v13, 5, v21
	v_add_lshl_u32 v20, v20, v21, 4
	global_load_b128 v[15:18], v13, s[10:11]
	s_wait_loadcnt_dscnt 0x0
	v_mul_f64_e32 v[11:12], v[9:10], v[17:18]
	scratch_store_b128 off, v[15:18], off offset:456 ; 16-byte Folded Spill
	v_fma_f64 v[38:39], v[7:8], v[15:16], -v[11:12]
	v_mul_f64_e32 v[7:8], v[7:8], v[17:18]
	s_delay_alu instid0(VALU_DEP_1)
	v_fma_f64 v[40:41], v[9:10], v[15:16], v[7:8]
	global_load_b128 v[15:18], v13, s[10:11] offset:16
	ds_load_b128 v[7:10], v140 offset:18144
	s_wait_loadcnt_dscnt 0x0
	v_mul_f64_e32 v[11:12], v[9:10], v[17:18]
	scratch_store_b128 off, v[15:18], off offset:472 ; 16-byte Folded Spill
	v_fma_f64 v[42:43], v[7:8], v[15:16], -v[11:12]
	v_mul_f64_e32 v[7:8], v[7:8], v[17:18]
	s_delay_alu instid0(VALU_DEP_1) | instskip(SKIP_1) | instid1(VALU_DEP_1)
	v_fma_f64 v[44:45], v[9:10], v[15:16], v[7:8]
	v_and_b32_e32 v15, 0xff, v6
	v_mul_lo_u16 v7, 0xab, v15
	s_delay_alu instid0(VALU_DEP_1) | instskip(NEXT) | instid1(VALU_DEP_1)
	v_lshrrev_b16 v22, 9, v7
	v_mul_lo_u16 v7, v22, 3
	s_delay_alu instid0(VALU_DEP_1) | instskip(NEXT) | instid1(VALU_DEP_1)
	v_sub_nc_u16 v7, v6, v7
	v_and_b32_e32 v23, 0xff, v7
	ds_load_b128 v[7:10], v140 offset:10080
	v_lshlrev_b32_e32 v13, 5, v23
	global_load_b128 v[16:19], v13, s[10:11]
	s_wait_loadcnt_dscnt 0x0
	v_mul_f64_e32 v[11:12], v[9:10], v[18:19]
	scratch_store_b128 off, v[16:19], off offset:488 ; 16-byte Folded Spill
	v_fma_f64 v[50:51], v[7:8], v[16:17], -v[11:12]
	v_mul_f64_e32 v[7:8], v[7:8], v[18:19]
	s_delay_alu instid0(VALU_DEP_1)
	v_fma_f64 v[52:53], v[9:10], v[16:17], v[7:8]
	global_load_b128 v[16:19], v13, s[10:11] offset:16
	ds_load_b128 v[7:10], v140 offset:19152
	v_and_b32_e32 v13, 0xff, v5
	s_wait_loadcnt_dscnt 0x0
	v_mul_f64_e32 v[11:12], v[9:10], v[18:19]
	scratch_store_b128 off, v[16:19], off offset:504 ; 16-byte Folded Spill
	v_fma_f64 v[54:55], v[7:8], v[16:17], -v[11:12]
	v_mul_f64_e32 v[7:8], v[7:8], v[18:19]
	s_delay_alu instid0(VALU_DEP_1) | instskip(SKIP_1) | instid1(VALU_DEP_1)
	v_fma_f64 v[56:57], v[9:10], v[16:17], v[7:8]
	v_mul_lo_u16 v7, 0xab, v13
	v_lshrrev_b16 v24, 9, v7
	s_delay_alu instid0(VALU_DEP_1) | instskip(NEXT) | instid1(VALU_DEP_1)
	v_mul_lo_u16 v7, v24, 3
	v_sub_nc_u16 v7, v5, v7
	s_delay_alu instid0(VALU_DEP_1)
	v_and_b32_e32 v25, 0xff, v7
	ds_load_b128 v[7:10], v140 offset:11088
	v_lshlrev_b32_e32 v16, 5, v25
	s_clause 0x1
	global_load_b128 v[26:29], v16, s[10:11]
	global_load_b128 v[16:19], v16, s[10:11] offset:16
	s_wait_loadcnt_dscnt 0x100
	v_mul_f64_e32 v[11:12], v[9:10], v[28:29]
	scratch_store_b128 off, v[26:29], off offset:520 ; 16-byte Folded Spill
	s_wait_loadcnt 0x0
	scratch_store_b128 off, v[16:19], off offset:536 ; 16-byte Folded Spill
	v_fma_f64 v[62:63], v[7:8], v[26:27], -v[11:12]
	v_mul_f64_e32 v[7:8], v[7:8], v[28:29]
	s_delay_alu instid0(VALU_DEP_1) | instskip(SKIP_3) | instid1(VALU_DEP_1)
	v_fma_f64 v[64:65], v[9:10], v[26:27], v[7:8]
	ds_load_b128 v[7:10], v140 offset:20160
	s_wait_dscnt 0x0
	v_mul_f64_e32 v[11:12], v[9:10], v[18:19]
	v_fma_f64 v[66:67], v[7:8], v[16:17], -v[11:12]
	v_mul_f64_e32 v[7:8], v[7:8], v[18:19]
	v_and_b32_e32 v12, 0xff, v143
	s_delay_alu instid0(VALU_DEP_3) | instskip(NEXT) | instid1(VALU_DEP_3)
	v_add_f64_e32 v[70:71], v[62:63], v[66:67]
	v_fma_f64 v[68:69], v[9:10], v[16:17], v[7:8]
	s_delay_alu instid0(VALU_DEP_3) | instskip(NEXT) | instid1(VALU_DEP_1)
	v_mul_lo_u16 v7, 0xab, v12
	v_lshrrev_b16 v26, 9, v7
	s_delay_alu instid0(VALU_DEP_1) | instskip(NEXT) | instid1(VALU_DEP_1)
	v_mul_lo_u16 v7, v26, 3
	v_sub_nc_u16 v7, v143, v7
	s_delay_alu instid0(VALU_DEP_1)
	v_and_b32_e32 v27, 0xff, v7
	ds_load_b128 v[7:10], v140 offset:12096
	v_lshlrev_b32_e32 v11, 5, v27
	global_load_b128 v[28:31], v11, s[10:11]
	v_add_f64_e32 v[72:73], v[64:65], v[68:69]
	s_wait_loadcnt_dscnt 0x0
	v_mul_f64_e32 v[16:17], v[9:10], v[30:31]
	scratch_store_b128 off, v[28:31], off offset:552 ; 16-byte Folded Spill
	v_fma_f64 v[74:75], v[7:8], v[28:29], -v[16:17]
	v_mul_f64_e32 v[7:8], v[7:8], v[30:31]
	s_delay_alu instid0(VALU_DEP_1)
	v_fma_f64 v[76:77], v[9:10], v[28:29], v[7:8]
	global_load_b128 v[28:31], v11, s[10:11] offset:16
	ds_load_b128 v[7:10], v140 offset:21168
	v_and_b32_e32 v11, 0xffff, v4
	s_wait_loadcnt_dscnt 0x0
	v_mul_f64_e32 v[16:17], v[9:10], v[30:31]
	scratch_store_b128 off, v[28:31], off offset:568 ; 16-byte Folded Spill
	v_fma_f64 v[78:79], v[7:8], v[28:29], -v[16:17]
	v_mul_f64_e32 v[7:8], v[7:8], v[30:31]
	s_delay_alu instid0(VALU_DEP_2) | instskip(NEXT) | instid1(VALU_DEP_2)
	v_add_f64_e32 v[82:83], v[74:75], v[78:79]
	v_fma_f64 v[80:81], v[9:10], v[28:29], v[7:8]
	v_mul_u32_u24_e32 v7, 0xaaab, v11
	s_delay_alu instid0(VALU_DEP_1) | instskip(NEXT) | instid1(VALU_DEP_1)
	v_lshrrev_b32_e32 v28, 17, v7
	v_mul_lo_u16 v7, v28, 3
	s_delay_alu instid0(VALU_DEP_1) | instskip(NEXT) | instid1(VALU_DEP_1)
	v_sub_nc_u16 v29, v4, v7
	v_lshlrev_b16 v7, 1, v29
	s_delay_alu instid0(VALU_DEP_1) | instskip(NEXT) | instid1(VALU_DEP_1)
	v_and_b32_e32 v7, 0xffff, v7
	v_lshlrev_b32_e32 v18, 4, v7
	ds_load_b128 v[7:10], v140 offset:13104
	global_load_b128 v[30:33], v18, s[10:11]
	v_add_f64_e32 v[84:85], v[76:77], v[80:81]
	s_wait_loadcnt_dscnt 0x0
	v_mul_f64_e32 v[16:17], v[9:10], v[32:33]
	scratch_store_b128 off, v[30:33], off offset:584 ; 16-byte Folded Spill
	v_fma_f64 v[86:87], v[7:8], v[30:31], -v[16:17]
	v_mul_f64_e32 v[7:8], v[7:8], v[32:33]
	s_delay_alu instid0(VALU_DEP_1)
	v_fma_f64 v[88:89], v[9:10], v[30:31], v[7:8]
	global_load_b128 v[30:33], v18, s[10:11] offset:16
	ds_load_b128 v[7:10], v140 offset:22176
	s_wait_loadcnt_dscnt 0x0
	v_mul_f64_e32 v[16:17], v[9:10], v[32:33]
	scratch_store_b128 off, v[30:33], off offset:600 ; 16-byte Folded Spill
	v_fma_f64 v[90:91], v[7:8], v[30:31], -v[16:17]
	v_mul_f64_e32 v[7:8], v[7:8], v[32:33]
	ds_load_b128 v[16:19], v140 offset:14112
	v_add_f64_e32 v[94:95], v[86:87], v[90:91]
	v_fma_f64 v[92:93], v[9:10], v[30:31], v[7:8]
	v_and_b32_e32 v10, 0xffff, v3
	s_delay_alu instid0(VALU_DEP_1) | instskip(NEXT) | instid1(VALU_DEP_1)
	v_mul_u32_u24_e32 v7, 0xaaab, v10
	v_lshrrev_b32_e32 v30, 17, v7
	s_delay_alu instid0(VALU_DEP_1) | instskip(NEXT) | instid1(VALU_DEP_1)
	v_mul_lo_u16 v7, v30, 3
	v_sub_nc_u16 v31, v3, v7
	s_delay_alu instid0(VALU_DEP_1) | instskip(NEXT) | instid1(VALU_DEP_1)
	v_lshlrev_b16 v7, 1, v31
	v_and_b32_e32 v7, 0xffff, v7
	s_delay_alu instid0(VALU_DEP_1)
	v_lshlrev_b32_e32 v9, 4, v7
	v_add_f64_e32 v[96:97], v[88:89], v[92:93]
	global_load_b128 v[32:35], v9, s[10:11]
	s_wait_loadcnt_dscnt 0x0
	v_mul_f64_e32 v[7:8], v[18:19], v[34:35]
	scratch_store_b128 off, v[32:35], off offset:616 ; 16-byte Folded Spill
	v_fma_f64 v[98:99], v[16:17], v[32:33], -v[7:8]
	v_mul_f64_e32 v[7:8], v[16:17], v[34:35]
	s_delay_alu instid0(VALU_DEP_1)
	v_fma_f64 v[100:101], v[18:19], v[32:33], v[7:8]
	global_load_b128 v[32:35], v9, s[10:11] offset:16
	ds_load_b128 v[16:19], v140 offset:23184
	v_and_b32_e32 v9, 0xffff, v2
	s_wait_loadcnt_dscnt 0x0
	v_mul_f64_e32 v[7:8], v[18:19], v[34:35]
	scratch_store_b128 off, v[32:35], off offset:632 ; 16-byte Folded Spill
	v_fma_f64 v[102:103], v[16:17], v[32:33], -v[7:8]
	v_mul_f64_e32 v[7:8], v[16:17], v[34:35]
	s_delay_alu instid0(VALU_DEP_2) | instskip(NEXT) | instid1(VALU_DEP_2)
	v_add_f64_e32 v[106:107], v[98:99], v[102:103]
	v_fma_f64 v[104:105], v[18:19], v[32:33], v[7:8]
	v_mul_u32_u24_e32 v7, 0xaaab, v9
	ds_load_b128 v[16:19], v140 offset:15120
	v_lshrrev_b32_e32 v32, 17, v7
	s_delay_alu instid0(VALU_DEP_1) | instskip(NEXT) | instid1(VALU_DEP_1)
	v_mul_lo_u16 v7, v32, 3
	v_sub_nc_u16 v33, v2, v7
	s_delay_alu instid0(VALU_DEP_1) | instskip(NEXT) | instid1(VALU_DEP_1)
	v_lshlrev_b16 v7, 1, v33
	v_and_b32_e32 v7, 0xffff, v7
	s_delay_alu instid0(VALU_DEP_1)
	v_lshlrev_b32_e32 v34, 4, v7
	s_clause 0x1
	global_load_b128 v[46:49], v34, s[10:11]
	global_load_b128 v[34:37], v34, s[10:11] offset:16
	v_add_f64_e32 v[108:109], v[100:101], v[104:105]
	s_wait_loadcnt_dscnt 0x100
	v_mul_f64_e32 v[7:8], v[18:19], v[48:49]
	scratch_store_b128 off, v[46:49], off offset:648 ; 16-byte Folded Spill
	s_wait_loadcnt 0x0
	scratch_store_b128 off, v[34:37], off offset:668 ; 16-byte Folded Spill
	v_fma_f64 v[110:111], v[16:17], v[46:47], -v[7:8]
	v_mul_f64_e32 v[7:8], v[16:17], v[48:49]
	s_delay_alu instid0(VALU_DEP_1) | instskip(SKIP_3) | instid1(VALU_DEP_1)
	v_fma_f64 v[112:113], v[18:19], v[46:47], v[7:8]
	ds_load_b128 v[16:19], v140 offset:24192
	s_wait_dscnt 0x0
	v_mul_f64_e32 v[7:8], v[18:19], v[36:37]
	v_fma_f64 v[114:115], v[16:17], v[34:35], -v[7:8]
	v_mul_f64_e32 v[7:8], v[16:17], v[36:37]
	s_delay_alu instid0(VALU_DEP_2) | instskip(NEXT) | instid1(VALU_DEP_2)
	v_add_f64_e32 v[118:119], v[110:111], v[114:115]
	v_fma_f64 v[116:117], v[18:19], v[34:35], v[7:8]
	v_and_b32_e32 v8, 0xffff, v1
	ds_load_b128 v[34:37], v140 offset:16128
	v_mul_u32_u24_e32 v7, 0xaaab, v8
	s_delay_alu instid0(VALU_DEP_1) | instskip(NEXT) | instid1(VALU_DEP_1)
	v_lshrrev_b32_e32 v16, 17, v7
	v_mul_lo_u16 v7, v16, 3
	s_delay_alu instid0(VALU_DEP_1) | instskip(NEXT) | instid1(VALU_DEP_1)
	v_sub_nc_u16 v17, v1, v7
	v_lshlrev_b16 v7, 1, v17
	v_mad_u16 v16, v16, 9, v17
	s_delay_alu instid0(VALU_DEP_2) | instskip(NEXT) | instid1(VALU_DEP_2)
	v_and_b32_e32 v7, 0xffff, v7
	v_and_b32_e32 v16, 0xffff, v16
	s_delay_alu instid0(VALU_DEP_2) | instskip(NEXT) | instid1(VALU_DEP_2)
	v_lshlrev_b32_e32 v7, 4, v7
	v_lshlrev_b32_e32 v16, 4, v16
	v_add_f64_e32 v[120:121], v[112:113], v[116:117]
	global_load_b128 v[46:49], v7, s[10:11]
	s_wait_loadcnt_dscnt 0x0
	v_mul_f64_e32 v[18:19], v[36:37], v[48:49]
	scratch_store_b128 off, v[46:49], off offset:688 ; 16-byte Folded Spill
	v_fma_f64 v[122:123], v[34:35], v[46:47], -v[18:19]
	v_mul_f64_e32 v[18:19], v[34:35], v[48:49]
	s_delay_alu instid0(VALU_DEP_1)
	v_fma_f64 v[124:125], v[36:37], v[46:47], v[18:19]
	global_load_b128 v[46:49], v7, s[10:11] offset:16
	ds_load_b128 v[34:37], v140 offset:25200
	v_and_b32_e32 v7, 0xffff, v0
	s_wait_loadcnt_dscnt 0x0
	v_mul_f64_e32 v[18:19], v[36:37], v[48:49]
	scratch_store_b128 off, v[46:49], off offset:708 ; 16-byte Folded Spill
	v_fma_f64 v[126:127], v[34:35], v[46:47], -v[18:19]
	v_mul_f64_e32 v[18:19], v[34:35], v[48:49]
	s_delay_alu instid0(VALU_DEP_2) | instskip(NEXT) | instid1(VALU_DEP_2)
	v_add_f64_e32 v[130:131], v[122:123], v[126:127]
	v_fma_f64 v[128:129], v[36:37], v[46:47], v[18:19]
	v_mul_u32_u24_e32 v18, 0xaaab, v7
	s_delay_alu instid0(VALU_DEP_1) | instskip(NEXT) | instid1(VALU_DEP_1)
	v_lshrrev_b32_e32 v18, 17, v18
	v_mul_lo_u16 v19, v18, 3
	s_delay_alu instid0(VALU_DEP_1) | instskip(NEXT) | instid1(VALU_DEP_1)
	v_sub_nc_u16 v19, v0, v19
	v_lshlrev_b16 v34, 1, v19
	s_delay_alu instid0(VALU_DEP_1) | instskip(NEXT) | instid1(VALU_DEP_1)
	v_and_b32_e32 v34, 0xffff, v34
	v_lshlrev_b32_e32 v48, 4, v34
	ds_load_b128 v[34:37], v140 offset:17136
	global_load_b128 v[58:61], v48, s[10:11]
	v_add_f64_e32 v[132:133], v[124:125], v[128:129]
	s_wait_loadcnt_dscnt 0x0
	v_mul_f64_e32 v[46:47], v[36:37], v[60:61]
	scratch_store_b128 off, v[58:61], off offset:728 ; 16-byte Folded Spill
	v_fma_f64 v[134:135], v[34:35], v[58:59], -v[46:47]
	v_mul_f64_e32 v[34:35], v[34:35], v[60:61]
	s_delay_alu instid0(VALU_DEP_1)
	v_fma_f64 v[136:137], v[36:37], v[58:59], v[34:35]
	global_load_b128 v[58:61], v48, s[10:11] offset:16
	ds_load_b128 v[34:37], v140 offset:26208
	v_add_f64_e32 v[48:49], v[40:41], v[44:45]
	s_wait_loadcnt_dscnt 0x0
	v_mul_f64_e32 v[46:47], v[36:37], v[60:61]
	scratch_store_b128 off, v[58:61], off offset:752 ; 16-byte Folded Spill
	v_fma_f64 v[138:139], v[34:35], v[58:59], -v[46:47]
	v_mul_f64_e32 v[34:35], v[34:35], v[60:61]
	v_add_f64_e32 v[46:47], v[38:39], v[42:43]
	v_add_f64_e32 v[60:61], v[52:53], v[56:57]
	s_delay_alu instid0(VALU_DEP_4) | instskip(NEXT) | instid1(VALU_DEP_4)
	v_add_f64_e32 v[146:147], v[134:135], v[138:139]
	v_fma_f64 v[144:145], v[36:37], v[58:59], v[34:35]
	ds_load_b128 v[34:37], v140
	v_add_f64_e32 v[58:59], v[50:51], v[54:55]
	s_wait_dscnt 0x0
	v_fma_f64 v[48:49], v[48:49], -0.5, v[36:37]
	v_add_f64_e32 v[36:37], v[36:37], v[40:41]
	v_fma_f64 v[46:47], v[46:47], -0.5, v[34:35]
	v_add_f64_e32 v[34:35], v[34:35], v[38:39]
	v_add_f64_e64 v[40:41], v[40:41], -v[44:45]
	v_add_f64_e32 v[148:149], v[136:137], v[144:145]
	v_add_f64_e32 v[36:37], v[36:37], v[44:45]
	v_add_f64_e64 v[44:45], v[38:39], -v[42:43]
	v_add_f64_e32 v[34:35], v[34:35], v[42:43]
	v_fma_f64 v[38:39], v[40:41], s[2:3], v[46:47]
	v_fma_f64 v[42:43], v[40:41], s[12:13], v[46:47]
	s_delay_alu instid0(VALU_DEP_4)
	v_fma_f64 v[40:41], v[44:45], s[12:13], v[48:49]
	v_fma_f64 v[44:45], v[44:45], s[2:3], v[48:49]
	ds_load_b128 v[46:49], v140 offset:1008
	s_wait_dscnt 0x0
	v_fma_f64 v[60:61], v[60:61], -0.5, v[48:49]
	v_add_f64_e32 v[48:49], v[48:49], v[52:53]
	v_fma_f64 v[58:59], v[58:59], -0.5, v[46:47]
	v_add_f64_e32 v[46:47], v[46:47], v[50:51]
	v_add_f64_e64 v[52:53], v[52:53], -v[56:57]
	s_delay_alu instid0(VALU_DEP_4) | instskip(SKIP_1) | instid1(VALU_DEP_4)
	v_add_f64_e32 v[48:49], v[48:49], v[56:57]
	v_add_f64_e64 v[56:57], v[50:51], -v[54:55]
	v_add_f64_e32 v[46:47], v[46:47], v[54:55]
	s_delay_alu instid0(VALU_DEP_4) | instskip(SKIP_1) | instid1(VALU_DEP_4)
	v_fma_f64 v[50:51], v[52:53], s[2:3], v[58:59]
	v_fma_f64 v[54:55], v[52:53], s[12:13], v[58:59]
	v_fma_f64 v[52:53], v[56:57], s[12:13], v[60:61]
	v_fma_f64 v[56:57], v[56:57], s[2:3], v[60:61]
	ds_load_b128 v[58:61], v140 offset:2016
	s_wait_dscnt 0x0
	v_fma_f64 v[72:73], v[72:73], -0.5, v[60:61]
	v_add_f64_e32 v[60:61], v[60:61], v[64:65]
	v_fma_f64 v[70:71], v[70:71], -0.5, v[58:59]
	v_add_f64_e32 v[58:59], v[58:59], v[62:63]
	v_add_f64_e64 v[64:65], v[64:65], -v[68:69]
	s_delay_alu instid0(VALU_DEP_4) | instskip(SKIP_1) | instid1(VALU_DEP_4)
	v_add_f64_e32 v[60:61], v[60:61], v[68:69]
	v_add_f64_e64 v[68:69], v[62:63], -v[66:67]
	v_add_f64_e32 v[58:59], v[58:59], v[66:67]
	s_delay_alu instid0(VALU_DEP_4) | instskip(SKIP_1) | instid1(VALU_DEP_4)
	v_fma_f64 v[62:63], v[64:65], s[2:3], v[70:71]
	v_fma_f64 v[66:67], v[64:65], s[12:13], v[70:71]
	v_fma_f64 v[64:65], v[68:69], s[12:13], v[72:73]
	v_fma_f64 v[68:69], v[68:69], s[2:3], v[72:73]
	ds_load_b128 v[70:73], v140 offset:3024
	s_wait_dscnt 0x0
	v_fma_f64 v[84:85], v[84:85], -0.5, v[72:73]
	v_add_f64_e32 v[72:73], v[72:73], v[76:77]
	v_fma_f64 v[82:83], v[82:83], -0.5, v[70:71]
	v_add_f64_e32 v[70:71], v[70:71], v[74:75]
	v_add_f64_e64 v[76:77], v[76:77], -v[80:81]
	s_delay_alu instid0(VALU_DEP_4) | instskip(SKIP_1) | instid1(VALU_DEP_4)
	v_add_f64_e32 v[72:73], v[72:73], v[80:81]
	v_add_f64_e64 v[80:81], v[74:75], -v[78:79]
	v_add_f64_e32 v[70:71], v[70:71], v[78:79]
	s_delay_alu instid0(VALU_DEP_4) | instskip(SKIP_1) | instid1(VALU_DEP_4)
	v_fma_f64 v[74:75], v[76:77], s[2:3], v[82:83]
	v_fma_f64 v[78:79], v[76:77], s[12:13], v[82:83]
	v_fma_f64 v[76:77], v[80:81], s[12:13], v[84:85]
	v_fma_f64 v[80:81], v[80:81], s[2:3], v[84:85]
	ds_load_b128 v[82:85], v140 offset:4032
	s_wait_dscnt 0x0
	v_fma_f64 v[96:97], v[96:97], -0.5, v[84:85]
	v_add_f64_e32 v[84:85], v[84:85], v[88:89]
	v_fma_f64 v[94:95], v[94:95], -0.5, v[82:83]
	v_add_f64_e32 v[82:83], v[82:83], v[86:87]
	v_add_f64_e64 v[88:89], v[88:89], -v[92:93]
	s_delay_alu instid0(VALU_DEP_4) | instskip(SKIP_1) | instid1(VALU_DEP_4)
	v_add_f64_e32 v[84:85], v[84:85], v[92:93]
	v_add_f64_e64 v[92:93], v[86:87], -v[90:91]
	v_add_f64_e32 v[82:83], v[82:83], v[90:91]
	s_delay_alu instid0(VALU_DEP_4) | instskip(SKIP_1) | instid1(VALU_DEP_4)
	v_fma_f64 v[86:87], v[88:89], s[2:3], v[94:95]
	v_fma_f64 v[90:91], v[88:89], s[12:13], v[94:95]
	v_fma_f64 v[88:89], v[92:93], s[12:13], v[96:97]
	v_fma_f64 v[92:93], v[92:93], s[2:3], v[96:97]
	ds_load_b128 v[94:97], v140 offset:5040
	s_wait_dscnt 0x0
	v_fma_f64 v[108:109], v[108:109], -0.5, v[96:97]
	v_add_f64_e32 v[96:97], v[96:97], v[100:101]
	v_fma_f64 v[106:107], v[106:107], -0.5, v[94:95]
	v_add_f64_e32 v[94:95], v[94:95], v[98:99]
	v_add_f64_e64 v[100:101], v[100:101], -v[104:105]
	s_delay_alu instid0(VALU_DEP_4) | instskip(SKIP_1) | instid1(VALU_DEP_4)
	v_add_f64_e32 v[96:97], v[96:97], v[104:105]
	v_add_f64_e64 v[104:105], v[98:99], -v[102:103]
	v_add_f64_e32 v[94:95], v[94:95], v[102:103]
	s_delay_alu instid0(VALU_DEP_4) | instskip(SKIP_1) | instid1(VALU_DEP_4)
	v_fma_f64 v[98:99], v[100:101], s[2:3], v[106:107]
	v_fma_f64 v[102:103], v[100:101], s[12:13], v[106:107]
	v_fma_f64 v[100:101], v[104:105], s[12:13], v[108:109]
	v_fma_f64 v[104:105], v[104:105], s[2:3], v[108:109]
	ds_load_b128 v[106:109], v140 offset:6048
	s_wait_dscnt 0x0
	v_fma_f64 v[120:121], v[120:121], -0.5, v[108:109]
	v_add_f64_e32 v[108:109], v[108:109], v[112:113]
	v_fma_f64 v[118:119], v[118:119], -0.5, v[106:107]
	v_add_f64_e32 v[106:107], v[106:107], v[110:111]
	v_add_f64_e64 v[112:113], v[112:113], -v[116:117]
	s_delay_alu instid0(VALU_DEP_4) | instskip(SKIP_1) | instid1(VALU_DEP_4)
	v_add_f64_e32 v[108:109], v[108:109], v[116:117]
	v_add_f64_e64 v[116:117], v[110:111], -v[114:115]
	v_add_f64_e32 v[106:107], v[106:107], v[114:115]
	s_delay_alu instid0(VALU_DEP_4) | instskip(SKIP_1) | instid1(VALU_DEP_4)
	v_fma_f64 v[110:111], v[112:113], s[2:3], v[118:119]
	v_fma_f64 v[114:115], v[112:113], s[12:13], v[118:119]
	v_fma_f64 v[112:113], v[116:117], s[12:13], v[120:121]
	v_fma_f64 v[116:117], v[116:117], s[2:3], v[120:121]
	ds_load_b128 v[118:121], v140 offset:7056
	s_wait_dscnt 0x0
	v_fma_f64 v[132:133], v[132:133], -0.5, v[120:121]
	v_add_f64_e32 v[120:121], v[120:121], v[124:125]
	v_fma_f64 v[130:131], v[130:131], -0.5, v[118:119]
	v_add_f64_e32 v[118:119], v[118:119], v[122:123]
	v_add_f64_e64 v[124:125], v[124:125], -v[128:129]
	s_delay_alu instid0(VALU_DEP_4) | instskip(SKIP_1) | instid1(VALU_DEP_4)
	v_add_f64_e32 v[120:121], v[120:121], v[128:129]
	v_add_f64_e64 v[128:129], v[122:123], -v[126:127]
	v_add_f64_e32 v[118:119], v[118:119], v[126:127]
	s_delay_alu instid0(VALU_DEP_4) | instskip(SKIP_1) | instid1(VALU_DEP_4)
	v_fma_f64 v[122:123], v[124:125], s[2:3], v[130:131]
	v_fma_f64 v[126:127], v[124:125], s[12:13], v[130:131]
	v_fma_f64 v[124:125], v[128:129], s[12:13], v[132:133]
	v_fma_f64 v[128:129], v[128:129], s[2:3], v[132:133]
	ds_load_b128 v[130:133], v140 offset:8064
	global_wb scope:SCOPE_SE
	s_wait_storecnt_dscnt 0x0
	s_barrier_signal -1
	s_barrier_wait -1
	global_inv scope:SCOPE_SE
	ds_store_b128 v20, v[34:37]
	ds_store_b128 v20, v[38:41] offset:48
	scratch_store_b32 off, v20, off offset:836 ; 4-byte Folded Spill
	ds_store_b128 v20, v[42:45] offset:96
	v_and_b32_e32 v20, 0xffff, v22
	s_delay_alu instid0(VALU_DEP_1) | instskip(NEXT) | instid1(VALU_DEP_1)
	v_mul_u32_u24_e32 v20, 9, v20
	v_add_lshl_u32 v20, v20, v23, 4
	ds_store_b128 v20, v[46:49]
	ds_store_b128 v20, v[50:53] offset:48
	v_fma_f64 v[146:147], v[146:147], -0.5, v[130:131]
	v_add_f64_e32 v[130:131], v[130:131], v[134:135]
	scratch_store_b32 off, v20, off offset:828 ; 4-byte Folded Spill
	ds_store_b128 v20, v[54:57] offset:96
	v_and_b32_e32 v20, 0xffff, v24
	v_fma_f64 v[148:149], v[148:149], -0.5, v[132:133]
	v_add_f64_e32 v[132:133], v[132:133], v[136:137]
	v_add_f64_e64 v[136:137], v[136:137], -v[144:145]
	s_delay_alu instid0(VALU_DEP_4) | instskip(NEXT) | instid1(VALU_DEP_1)
	v_mul_u32_u24_e32 v20, 9, v20
	v_add_lshl_u32 v20, v20, v25, 4
	ds_store_b128 v20, v[58:61]
	ds_store_b128 v20, v[62:65] offset:48
	scratch_store_b32 off, v20, off offset:804 ; 4-byte Folded Spill
	ds_store_b128 v20, v[66:69] offset:96
	v_and_b32_e32 v20, 0xffff, v26
	s_delay_alu instid0(VALU_DEP_1) | instskip(NEXT) | instid1(VALU_DEP_1)
	v_mul_u32_u24_e32 v20, 9, v20
	v_add_lshl_u32 v20, v20, v27, 4
	ds_store_b128 v20, v[70:73]
	ds_store_b128 v20, v[74:77] offset:48
	scratch_store_b32 off, v20, off offset:796 ; 4-byte Folded Spill
	v_add_f64_e32 v[130:131], v[130:131], v[138:139]
	v_add_f64_e64 v[138:139], v[134:135], -v[138:139]
	ds_store_b128 v20, v[78:81] offset:96
	v_mad_u16 v20, v28, 9, v29
	v_add_f64_e32 v[132:133], v[132:133], v[144:145]
	v_fma_f64 v[134:135], v[136:137], s[2:3], v[146:147]
	v_fma_f64 v[144:145], v[136:137], s[12:13], v[146:147]
	s_delay_alu instid0(VALU_DEP_4) | instskip(NEXT) | instid1(VALU_DEP_1)
	v_and_b32_e32 v20, 0xffff, v20
	v_lshlrev_b32_e32 v20, 4, v20
	ds_store_b128 v20, v[82:85]
	ds_store_b128 v20, v[86:89] offset:48
	scratch_store_b32 off, v20, off offset:772 ; 4-byte Folded Spill
	ds_store_b128 v20, v[90:93] offset:96
	v_mad_u16 v20, v30, 9, v31
	s_delay_alu instid0(VALU_DEP_1) | instskip(NEXT) | instid1(VALU_DEP_1)
	v_and_b32_e32 v20, 0xffff, v20
	v_lshlrev_b32_e32 v20, 4, v20
	ds_store_b128 v20, v[94:97]
	ds_store_b128 v20, v[98:101] offset:48
	scratch_store_b32 off, v20, off offset:768 ; 4-byte Folded Spill
	ds_store_b128 v20, v[102:105] offset:96
	v_fma_f64 v[146:147], v[138:139], s[2:3], v[148:149]
	v_fma_f64 v[136:137], v[138:139], s[12:13], v[148:149]
	v_mad_u16 v20, v32, 9, v33
	s_delay_alu instid0(VALU_DEP_1) | instskip(NEXT) | instid1(VALU_DEP_1)
	v_and_b32_e32 v20, 0xffff, v20
	v_lshlrev_b32_e32 v20, 4, v20
	ds_store_b128 v20, v[106:109]
	ds_store_b128 v20, v[110:113] offset:48
	scratch_store_b32 off, v20, off offset:744 ; 4-byte Folded Spill
	ds_store_b128 v20, v[114:117] offset:96
	ds_store_b128 v16, v[118:121]
	ds_store_b128 v16, v[122:125] offset:48
	scratch_store_b32 off, v16, off offset:1556 ; 4-byte Folded Spill
	ds_store_b128 v16, v[126:129] offset:96
	v_mad_u16 v16, v18, 9, v19
	s_delay_alu instid0(VALU_DEP_1) | instskip(NEXT) | instid1(VALU_DEP_1)
	v_and_b32_e32 v16, 0xffff, v16
	v_lshlrev_b32_e32 v16, 4, v16
	ds_store_b128 v16, v[130:133]
	ds_store_b128 v16, v[134:137] offset:48
	scratch_store_b32 off, v16, off offset:1424 ; 4-byte Folded Spill
	ds_store_b128 v16, v[144:147] offset:96
	v_mul_lo_u16 v16, v14, 57
	global_wb scope:SCOPE_SE
	s_wait_storecnt_dscnt 0x0
	s_barrier_signal -1
	s_barrier_wait -1
	global_inv scope:SCOPE_SE
	v_lshrrev_b16 v16, 9, v16
	ds_load_b128 v[18:21], v140 offset:9072
	v_mul_lo_u16 v14, v14, 19
	v_mul_lo_u16 v17, v16, 9
	;; [unrolled: 1-line block ×3, first 2 shown]
	s_delay_alu instid0(VALU_DEP_3) | instskip(NEXT) | instid1(VALU_DEP_3)
	v_lshrrev_b16 v14, 9, v14
	v_sub_nc_u16 v17, v142, v17
	s_delay_alu instid0(VALU_DEP_3) | instskip(NEXT) | instid1(VALU_DEP_2)
	v_and_b32_e32 v16, 0xff, v16
	v_and_b32_e32 v17, 0xff, v17
	s_delay_alu instid0(VALU_DEP_1) | instskip(NEXT) | instid1(VALU_DEP_3)
	v_lshlrev_b32_e32 v24, 5, v17
	v_add_lshl_u32 v16, v16, v17, 4
	global_load_b128 v[25:28], v24, s[10:11] offset:96
	s_wait_loadcnt_dscnt 0x0
	v_mul_f64_e32 v[22:23], v[20:21], v[27:28]
	scratch_store_b128 off, v[25:28], off offset:780 ; 16-byte Folded Spill
	v_fma_f64 v[36:37], v[18:19], v[25:26], -v[22:23]
	v_mul_f64_e32 v[18:19], v[18:19], v[27:28]
	s_delay_alu instid0(VALU_DEP_1)
	v_fma_f64 v[38:39], v[20:21], v[25:26], v[18:19]
	global_load_b128 v[24:27], v24, s[10:11] offset:112
	ds_load_b128 v[18:21], v140 offset:18144
	s_wait_loadcnt_dscnt 0x0
	v_mul_f64_e32 v[22:23], v[20:21], v[26:27]
	scratch_store_b128 off, v[24:27], off offset:808 ; 16-byte Folded Spill
	v_fma_f64 v[40:41], v[18:19], v[24:25], -v[22:23]
	v_mul_f64_e32 v[18:19], v[18:19], v[26:27]
	s_delay_alu instid0(VALU_DEP_1) | instskip(SKIP_4) | instid1(VALU_DEP_2)
	v_fma_f64 v[42:43], v[20:21], v[24:25], v[18:19]
	v_mul_lo_u16 v18, v15, 57
	ds_load_b128 v[20:23], v140 offset:10080
	v_mul_lo_u16 v15, v15, 19
	v_lshrrev_b16 v18, 9, v18
	v_lshrrev_b16 v15, 9, v15
	s_delay_alu instid0(VALU_DEP_2) | instskip(NEXT) | instid1(VALU_DEP_1)
	v_mul_lo_u16 v19, v18, 9
	v_sub_nc_u16 v19, v6, v19
	s_delay_alu instid0(VALU_DEP_1) | instskip(NEXT) | instid1(VALU_DEP_1)
	v_and_b32_e32 v19, 0xff, v19
	v_lshlrev_b32_e32 v26, 5, v19
	global_load_b128 v[27:30], v26, s[10:11] offset:96
	s_wait_loadcnt_dscnt 0x0
	v_mul_f64_e32 v[24:25], v[22:23], v[29:30]
	scratch_store_b128 off, v[27:30], off offset:840 ; 16-byte Folded Spill
	v_fma_f64 v[48:49], v[20:21], v[27:28], -v[24:25]
	v_mul_f64_e32 v[20:21], v[20:21], v[29:30]
	s_delay_alu instid0(VALU_DEP_1)
	v_fma_f64 v[50:51], v[22:23], v[27:28], v[20:21]
	global_load_b128 v[26:29], v26, s[10:11] offset:112
	ds_load_b128 v[20:23], v140 offset:19152
	s_wait_loadcnt_dscnt 0x0
	v_mul_f64_e32 v[24:25], v[22:23], v[28:29]
	scratch_store_b128 off, v[26:29], off offset:856 ; 16-byte Folded Spill
	v_fma_f64 v[52:53], v[20:21], v[26:27], -v[24:25]
	v_mul_f64_e32 v[20:21], v[20:21], v[28:29]
	s_delay_alu instid0(VALU_DEP_1) | instskip(SKIP_3) | instid1(VALU_DEP_1)
	v_fma_f64 v[54:55], v[22:23], v[26:27], v[20:21]
	v_mul_lo_u16 v20, v13, 57
	ds_load_b128 v[22:25], v140 offset:11088
	v_lshrrev_b16 v20, 9, v20
	v_mul_lo_u16 v21, v20, 9
	s_delay_alu instid0(VALU_DEP_1) | instskip(NEXT) | instid1(VALU_DEP_1)
	v_sub_nc_u16 v21, v5, v21
	v_and_b32_e32 v21, 0xff, v21
	s_delay_alu instid0(VALU_DEP_1)
	v_lshlrev_b32_e32 v28, 5, v21
	global_load_b128 v[29:32], v28, s[10:11] offset:96
	s_wait_loadcnt_dscnt 0x0
	v_mul_f64_e32 v[26:27], v[24:25], v[31:32]
	scratch_store_b128 off, v[29:32], off offset:872 ; 16-byte Folded Spill
	v_fma_f64 v[60:61], v[22:23], v[29:30], -v[26:27]
	v_mul_f64_e32 v[22:23], v[22:23], v[31:32]
	s_delay_alu instid0(VALU_DEP_1)
	v_fma_f64 v[62:63], v[24:25], v[29:30], v[22:23]
	global_load_b128 v[28:31], v28, s[10:11] offset:112
	ds_load_b128 v[22:25], v140 offset:20160
	s_wait_loadcnt_dscnt 0x0
	v_mul_f64_e32 v[26:27], v[24:25], v[30:31]
	scratch_store_b128 off, v[28:31], off offset:888 ; 16-byte Folded Spill
	v_fma_f64 v[64:65], v[22:23], v[28:29], -v[26:27]
	v_mul_f64_e32 v[22:23], v[22:23], v[30:31]
	s_delay_alu instid0(VALU_DEP_2) | instskip(NEXT) | instid1(VALU_DEP_2)
	v_add_f64_e32 v[68:69], v[60:61], v[64:65]
	v_fma_f64 v[66:67], v[24:25], v[28:29], v[22:23]
	v_mul_lo_u16 v22, v12, 57
	ds_load_b128 v[24:27], v140 offset:12096
	v_lshrrev_b16 v22, 9, v22
	s_delay_alu instid0(VALU_DEP_1) | instskip(NEXT) | instid1(VALU_DEP_1)
	v_mul_lo_u16 v23, v22, 9
	v_sub_nc_u16 v23, v143, v23
	s_delay_alu instid0(VALU_DEP_1) | instskip(NEXT) | instid1(VALU_DEP_1)
	v_and_b32_e32 v23, 0xff, v23
	v_lshlrev_b32_e32 v30, 5, v23
	global_load_b128 v[31:34], v30, s[10:11] offset:96
	v_add_f64_e32 v[70:71], v[62:63], v[66:67]
	s_wait_loadcnt_dscnt 0x0
	v_mul_f64_e32 v[28:29], v[26:27], v[33:34]
	scratch_store_b128 off, v[31:34], off offset:904 ; 16-byte Folded Spill
	v_fma_f64 v[72:73], v[24:25], v[31:32], -v[28:29]
	v_mul_f64_e32 v[24:25], v[24:25], v[33:34]
	s_delay_alu instid0(VALU_DEP_1)
	v_fma_f64 v[74:75], v[26:27], v[31:32], v[24:25]
	global_load_b128 v[30:33], v30, s[10:11] offset:112
	ds_load_b128 v[24:27], v140 offset:21168
	s_wait_loadcnt_dscnt 0x0
	v_mul_f64_e32 v[28:29], v[26:27], v[32:33]
	scratch_store_b128 off, v[30:33], off offset:920 ; 16-byte Folded Spill
	v_fma_f64 v[76:77], v[24:25], v[30:31], -v[28:29]
	v_mul_f64_e32 v[24:25], v[24:25], v[32:33]
	s_delay_alu instid0(VALU_DEP_2) | instskip(NEXT) | instid1(VALU_DEP_2)
	v_add_f64_e32 v[80:81], v[72:73], v[76:77]
	v_fma_f64 v[78:79], v[26:27], v[30:31], v[24:25]
	v_mul_u32_u24_e32 v24, 0xe38f, v11
	s_delay_alu instid0(VALU_DEP_1) | instskip(NEXT) | instid1(VALU_DEP_1)
	v_lshrrev_b32_e32 v24, 19, v24
	v_mul_lo_u16 v25, v24, 9
	s_delay_alu instid0(VALU_DEP_1) | instskip(NEXT) | instid1(VALU_DEP_1)
	v_sub_nc_u16 v25, v4, v25
	v_lshlrev_b16 v26, 5, v25
	s_delay_alu instid0(VALU_DEP_1) | instskip(NEXT) | instid1(VALU_DEP_1)
	v_and_b32_e32 v26, 0xffff, v26
	v_add_co_u32 v30, s15, s10, v26
	s_wait_alu 0xf1ff
	v_add_co_ci_u32_e64 v31, null, s11, 0, s15
	ds_load_b128 v[26:29], v140 offset:13104
	global_load_b128 v[44:47], v[30:31], off offset:96
	v_add_f64_e32 v[82:83], v[74:75], v[78:79]
	s_wait_loadcnt_dscnt 0x0
	v_mul_f64_e32 v[32:33], v[28:29], v[46:47]
	s_delay_alu instid0(VALU_DEP_1)
	v_fma_f64 v[84:85], v[26:27], v[44:45], -v[32:33]
	global_load_b128 v[32:35], v[30:31], off offset:112
	v_mul_f64_e32 v[26:27], v[26:27], v[46:47]
	scratch_store_b128 off, v[44:47], off offset:936 ; 16-byte Folded Spill
	v_fma_f64 v[86:87], v[28:29], v[44:45], v[26:27]
	ds_load_b128 v[26:29], v140 offset:22176
	s_wait_loadcnt 0x0
	scratch_store_b128 off, v[32:35], off offset:968 ; 16-byte Folded Spill
	s_wait_dscnt 0x0
	v_mul_f64_e32 v[30:31], v[28:29], v[34:35]
	s_delay_alu instid0(VALU_DEP_1) | instskip(SKIP_1) | instid1(VALU_DEP_2)
	v_fma_f64 v[88:89], v[26:27], v[32:33], -v[30:31]
	v_mul_f64_e32 v[26:27], v[26:27], v[34:35]
	v_add_f64_e32 v[92:93], v[84:85], v[88:89]
	s_delay_alu instid0(VALU_DEP_2) | instskip(SKIP_1) | instid1(VALU_DEP_1)
	v_fma_f64 v[90:91], v[28:29], v[32:33], v[26:27]
	v_mul_u32_u24_e32 v26, 0xe38f, v10
	v_lshrrev_b32_e32 v26, 19, v26
	s_delay_alu instid0(VALU_DEP_1) | instskip(NEXT) | instid1(VALU_DEP_1)
	v_mul_lo_u16 v27, v26, 9
	v_sub_nc_u16 v27, v3, v27
	s_delay_alu instid0(VALU_DEP_1) | instskip(NEXT) | instid1(VALU_DEP_1)
	v_lshlrev_b16 v28, 5, v27
	v_and_b32_e32 v28, 0xffff, v28
	s_delay_alu instid0(VALU_DEP_1)
	v_add_co_u32 v32, s15, s10, v28
	s_wait_alu 0xf1ff
	v_add_co_ci_u32_e64 v33, null, s11, 0, s15
	ds_load_b128 v[28:31], v140 offset:14112
	global_load_b128 v[44:47], v[32:33], off offset:96
	v_add_f64_e32 v[94:95], v[86:87], v[90:91]
	s_wait_loadcnt_dscnt 0x0
	v_mul_f64_e32 v[34:35], v[30:31], v[46:47]
	scratch_store_b128 off, v[44:47], off offset:1024 ; 16-byte Folded Spill
	v_fma_f64 v[96:97], v[28:29], v[44:45], -v[34:35]
	v_mul_f64_e32 v[28:29], v[28:29], v[46:47]
	s_delay_alu instid0(VALU_DEP_1) | instskip(SKIP_4) | instid1(VALU_DEP_1)
	v_fma_f64 v[98:99], v[30:31], v[44:45], v[28:29]
	global_load_b128 v[44:47], v[32:33], off offset:112
	ds_load_b128 v[28:31], v140 offset:23184
	s_wait_loadcnt_dscnt 0x0
	v_mul_f64_e32 v[32:33], v[30:31], v[46:47]
	v_fma_f64 v[100:101], v[28:29], v[44:45], -v[32:33]
	v_mul_f64_e32 v[28:29], v[28:29], v[46:47]
	s_delay_alu instid0(VALU_DEP_2) | instskip(NEXT) | instid1(VALU_DEP_2)
	v_add_f64_e32 v[104:105], v[96:97], v[100:101]
	v_fma_f64 v[102:103], v[30:31], v[44:45], v[28:29]
	v_mul_u32_u24_e32 v28, 0xe38f, v9
	s_delay_alu instid0(VALU_DEP_1) | instskip(NEXT) | instid1(VALU_DEP_1)
	v_lshrrev_b32_e32 v28, 19, v28
	v_mul_lo_u16 v29, v28, 9
	s_delay_alu instid0(VALU_DEP_1) | instskip(NEXT) | instid1(VALU_DEP_1)
	v_sub_nc_u16 v29, v2, v29
	v_lshlrev_b16 v30, 5, v29
	s_delay_alu instid0(VALU_DEP_1) | instskip(NEXT) | instid1(VALU_DEP_1)
	v_and_b32_e32 v30, 0xffff, v30
	v_add_co_u32 v34, s15, s10, v30
	s_wait_alu 0xf1ff
	v_add_co_ci_u32_e64 v35, null, s11, 0, s15
	ds_load_b128 v[30:33], v140 offset:15120
	global_load_b128 v[56:59], v[34:35], off offset:96
	scratch_store_b128 off, v[44:47], off offset:1076 ; 16-byte Folded Spill
	v_add_f64_e32 v[106:107], v[98:99], v[102:103]
	s_wait_loadcnt 0x0
	scratch_store_b128 off, v[56:59], off offset:1164 ; 16-byte Folded Spill
	s_wait_dscnt 0x0
	v_mul_f64_e32 v[44:45], v[32:33], v[58:59]
	s_delay_alu instid0(VALU_DEP_1) | instskip(SKIP_2) | instid1(VALU_DEP_1)
	v_fma_f64 v[108:109], v[30:31], v[56:57], -v[44:45]
	global_load_b128 v[44:47], v[34:35], off offset:112
	v_mul_f64_e32 v[30:31], v[30:31], v[58:59]
	v_fma_f64 v[110:111], v[32:33], v[56:57], v[30:31]
	ds_load_b128 v[30:33], v140 offset:24192
	s_wait_loadcnt_dscnt 0x0
	v_mul_f64_e32 v[34:35], v[32:33], v[46:47]
	scratch_store_b128 off, v[44:47], off offset:1200 ; 16-byte Folded Spill
	v_fma_f64 v[112:113], v[30:31], v[44:45], -v[34:35]
	v_mul_f64_e32 v[30:31], v[30:31], v[46:47]
	s_delay_alu instid0(VALU_DEP_2) | instskip(NEXT) | instid1(VALU_DEP_2)
	v_add_f64_e32 v[116:117], v[108:109], v[112:113]
	v_fma_f64 v[114:115], v[32:33], v[44:45], v[30:31]
	v_mul_u32_u24_e32 v30, 0xe38f, v8
	s_delay_alu instid0(VALU_DEP_1) | instskip(NEXT) | instid1(VALU_DEP_1)
	v_lshrrev_b32_e32 v30, 19, v30
	v_mul_lo_u16 v31, v30, 9
	s_delay_alu instid0(VALU_DEP_1) | instskip(NEXT) | instid1(VALU_DEP_1)
	v_sub_nc_u16 v31, v1, v31
	v_lshlrev_b16 v32, 5, v31
	s_delay_alu instid0(VALU_DEP_1) | instskip(NEXT) | instid1(VALU_DEP_1)
	v_and_b32_e32 v32, 0xffff, v32
	v_add_co_u32 v44, s15, s10, v32
	s_wait_alu 0xf1ff
	v_add_co_ci_u32_e64 v45, null, s11, 0, s15
	ds_load_b128 v[32:35], v140 offset:16128
	global_load_b128 v[56:59], v[44:45], off offset:96
	v_add_f64_e32 v[118:119], v[110:111], v[114:115]
	s_wait_loadcnt_dscnt 0x0
	v_mul_f64_e32 v[46:47], v[34:35], v[58:59]
	scratch_store_b128 off, v[56:59], off offset:1292 ; 16-byte Folded Spill
	v_fma_f64 v[120:121], v[32:33], v[56:57], -v[46:47]
	v_mul_f64_e32 v[32:33], v[32:33], v[58:59]
	s_delay_alu instid0(VALU_DEP_1)
	v_fma_f64 v[122:123], v[34:35], v[56:57], v[32:33]
	global_load_b128 v[56:59], v[44:45], off offset:112
	ds_load_b128 v[32:35], v140 offset:25200
	s_wait_loadcnt_dscnt 0x0
	v_mul_f64_e32 v[44:45], v[34:35], v[58:59]
	scratch_store_b128 off, v[56:59], off offset:1340 ; 16-byte Folded Spill
	v_fma_f64 v[124:125], v[32:33], v[56:57], -v[44:45]
	v_mul_f64_e32 v[32:33], v[32:33], v[58:59]
	s_delay_alu instid0(VALU_DEP_2) | instskip(NEXT) | instid1(VALU_DEP_2)
	v_add_f64_e32 v[128:129], v[120:121], v[124:125]
	v_fma_f64 v[126:127], v[34:35], v[56:57], v[32:33]
	v_mul_u32_u24_e32 v32, 0xe38f, v7
	s_delay_alu instid0(VALU_DEP_1) | instskip(NEXT) | instid1(VALU_DEP_1)
	v_lshrrev_b32_e32 v148, 19, v32
	v_mul_lo_u16 v32, v148, 9
	s_delay_alu instid0(VALU_DEP_1) | instskip(NEXT) | instid1(VALU_DEP_1)
	v_sub_nc_u16 v149, v0, v32
	v_lshlrev_b16 v32, 5, v149
	s_delay_alu instid0(VALU_DEP_1) | instskip(NEXT) | instid1(VALU_DEP_1)
	v_and_b32_e32 v32, 0xffff, v32
	v_add_co_u32 v44, s15, s10, v32
	s_wait_alu 0xf1ff
	v_add_co_ci_u32_e64 v45, null, s11, 0, s15
	ds_load_b128 v[32:35], v140 offset:17136
	global_load_b128 v[56:59], v[44:45], off offset:96
	v_add_f64_e32 v[130:131], v[122:123], v[126:127]
	s_wait_loadcnt_dscnt 0x0
	v_mul_f64_e32 v[46:47], v[34:35], v[58:59]
	scratch_store_b128 off, v[56:59], off offset:1408 ; 16-byte Folded Spill
	v_fma_f64 v[132:133], v[32:33], v[56:57], -v[46:47]
	v_mul_f64_e32 v[32:33], v[32:33], v[58:59]
	v_add_f64_e32 v[46:47], v[38:39], v[42:43]
	s_delay_alu instid0(VALU_DEP_2)
	v_fma_f64 v[134:135], v[34:35], v[56:57], v[32:33]
	global_load_b128 v[56:59], v[44:45], off offset:112
	ds_load_b128 v[32:35], v140 offset:26208
	s_wait_loadcnt_dscnt 0x0
	v_mul_f64_e32 v[44:45], v[34:35], v[58:59]
	scratch_store_b128 off, v[56:59], off offset:1472 ; 16-byte Folded Spill
	v_fma_f64 v[136:137], v[32:33], v[56:57], -v[44:45]
	v_mul_f64_e32 v[32:33], v[32:33], v[58:59]
	v_add_f64_e32 v[44:45], v[36:37], v[40:41]
	v_add_f64_e32 v[58:59], v[50:51], v[54:55]
	s_delay_alu instid0(VALU_DEP_4) | instskip(NEXT) | instid1(VALU_DEP_4)
	v_add_f64_e32 v[144:145], v[132:133], v[136:137]
	v_fma_f64 v[138:139], v[34:35], v[56:57], v[32:33]
	ds_load_b128 v[32:35], v140
	v_add_f64_e32 v[56:57], v[48:49], v[52:53]
	s_wait_dscnt 0x0
	v_fma_f64 v[46:47], v[46:47], -0.5, v[34:35]
	v_add_f64_e32 v[34:35], v[34:35], v[38:39]
	v_fma_f64 v[44:45], v[44:45], -0.5, v[32:33]
	v_add_f64_e32 v[32:33], v[32:33], v[36:37]
	v_add_f64_e64 v[38:39], v[38:39], -v[42:43]
	v_add_f64_e32 v[146:147], v[134:135], v[138:139]
	v_add_f64_e32 v[34:35], v[34:35], v[42:43]
	v_add_f64_e64 v[42:43], v[36:37], -v[40:41]
	v_add_f64_e32 v[32:33], v[32:33], v[40:41]
	v_fma_f64 v[36:37], v[38:39], s[2:3], v[44:45]
	v_fma_f64 v[40:41], v[38:39], s[12:13], v[44:45]
	s_delay_alu instid0(VALU_DEP_4)
	v_fma_f64 v[38:39], v[42:43], s[12:13], v[46:47]
	v_fma_f64 v[42:43], v[42:43], s[2:3], v[46:47]
	ds_load_b128 v[44:47], v140 offset:1008
	s_wait_dscnt 0x0
	v_fma_f64 v[58:59], v[58:59], -0.5, v[46:47]
	v_add_f64_e32 v[46:47], v[46:47], v[50:51]
	v_fma_f64 v[56:57], v[56:57], -0.5, v[44:45]
	v_add_f64_e32 v[44:45], v[44:45], v[48:49]
	v_add_f64_e64 v[50:51], v[50:51], -v[54:55]
	s_delay_alu instid0(VALU_DEP_4) | instskip(SKIP_1) | instid1(VALU_DEP_4)
	v_add_f64_e32 v[46:47], v[46:47], v[54:55]
	v_add_f64_e64 v[54:55], v[48:49], -v[52:53]
	v_add_f64_e32 v[44:45], v[44:45], v[52:53]
	s_delay_alu instid0(VALU_DEP_4) | instskip(SKIP_1) | instid1(VALU_DEP_4)
	v_fma_f64 v[48:49], v[50:51], s[2:3], v[56:57]
	v_fma_f64 v[52:53], v[50:51], s[12:13], v[56:57]
	v_fma_f64 v[50:51], v[54:55], s[12:13], v[58:59]
	v_fma_f64 v[54:55], v[54:55], s[2:3], v[58:59]
	ds_load_b128 v[56:59], v140 offset:2016
	s_wait_dscnt 0x0
	v_fma_f64 v[70:71], v[70:71], -0.5, v[58:59]
	v_add_f64_e32 v[58:59], v[58:59], v[62:63]
	v_fma_f64 v[68:69], v[68:69], -0.5, v[56:57]
	v_add_f64_e32 v[56:57], v[56:57], v[60:61]
	v_add_f64_e64 v[62:63], v[62:63], -v[66:67]
	s_delay_alu instid0(VALU_DEP_4) | instskip(SKIP_1) | instid1(VALU_DEP_4)
	v_add_f64_e32 v[58:59], v[58:59], v[66:67]
	v_add_f64_e64 v[66:67], v[60:61], -v[64:65]
	v_add_f64_e32 v[56:57], v[56:57], v[64:65]
	s_delay_alu instid0(VALU_DEP_4) | instskip(SKIP_1) | instid1(VALU_DEP_4)
	v_fma_f64 v[60:61], v[62:63], s[2:3], v[68:69]
	v_fma_f64 v[64:65], v[62:63], s[12:13], v[68:69]
	;; [unrolled: 16-line block ×7, first 2 shown]
	v_fma_f64 v[122:123], v[126:127], s[12:13], v[130:131]
	v_fma_f64 v[126:127], v[126:127], s[2:3], v[130:131]
	ds_load_b128 v[128:131], v140 offset:8064
	global_wb scope:SCOPE_SE
	s_wait_storecnt_dscnt 0x0
	s_barrier_signal -1
	s_barrier_wait -1
	global_inv scope:SCOPE_SE
	ds_store_b128 v16, v[32:35]
	ds_store_b128 v16, v[36:39] offset:144
	scratch_store_b32 off, v16, off offset:1740 ; 4-byte Folded Spill
	ds_store_b128 v16, v[40:43] offset:288
	v_and_b32_e32 v16, 0xffff, v18
	s_delay_alu instid0(VALU_DEP_1) | instskip(NEXT) | instid1(VALU_DEP_1)
	v_mul_u32_u24_e32 v16, 27, v16
	v_add_lshl_u32 v16, v16, v19, 4
	ds_store_b128 v16, v[44:47]
	ds_store_b128 v16, v[48:51] offset:144
	v_fma_f64 v[146:147], v[146:147], -0.5, v[130:131]
	v_add_f64_e32 v[130:131], v[130:131], v[134:135]
	scratch_store_b32 off, v16, off offset:1704 ; 4-byte Folded Spill
	ds_store_b128 v16, v[52:55] offset:288
	v_and_b32_e32 v16, 0xffff, v20
	v_fma_f64 v[144:145], v[144:145], -0.5, v[128:129]
	v_add_f64_e32 v[128:129], v[128:129], v[132:133]
	v_add_f64_e64 v[134:135], v[134:135], -v[138:139]
	s_delay_alu instid0(VALU_DEP_4) | instskip(NEXT) | instid1(VALU_DEP_1)
	v_mul_u32_u24_e32 v16, 27, v16
	v_add_lshl_u32 v16, v16, v21, 4
	ds_store_b128 v16, v[56:59]
	ds_store_b128 v16, v[60:63] offset:144
	scratch_store_b32 off, v16, off offset:1232 ; 4-byte Folded Spill
	ds_store_b128 v16, v[64:67] offset:288
	v_and_b32_e32 v16, 0xffff, v22
	s_delay_alu instid0(VALU_DEP_1) | instskip(NEXT) | instid1(VALU_DEP_1)
	v_mul_u32_u24_e32 v16, 27, v16
	v_add_lshl_u32 v16, v16, v23, 4
	ds_store_b128 v16, v[68:71]
	ds_store_b128 v16, v[72:75] offset:144
	scratch_store_b32 off, v16, off offset:1196 ; 4-byte Folded Spill
	v_add_f64_e32 v[130:131], v[130:131], v[138:139]
	v_add_f64_e64 v[138:139], v[132:133], -v[136:137]
	ds_store_b128 v16, v[76:79] offset:288
	v_mad_u16 v16, v24, 27, v25
	v_add_f64_e32 v[128:129], v[128:129], v[136:137]
	v_fma_f64 v[132:133], v[134:135], s[2:3], v[144:145]
	v_fma_f64 v[136:137], v[134:135], s[12:13], v[144:145]
	s_delay_alu instid0(VALU_DEP_4) | instskip(NEXT) | instid1(VALU_DEP_1)
	v_and_b32_e32 v16, 0xffff, v16
	v_lshlrev_b32_e32 v16, 4, v16
	ds_store_b128 v16, v[80:83]
	ds_store_b128 v16, v[84:87] offset:144
	scratch_store_b32 off, v16, off offset:1160 ; 4-byte Folded Spill
	ds_store_b128 v16, v[88:91] offset:288
	v_mad_u16 v16, v26, 27, v27
	s_delay_alu instid0(VALU_DEP_1) | instskip(NEXT) | instid1(VALU_DEP_1)
	v_and_b32_e32 v16, 0xffff, v16
	v_lshlrev_b32_e32 v16, 4, v16
	ds_store_b128 v16, v[92:95]
	ds_store_b128 v16, v[96:99] offset:144
	scratch_store_b32 off, v16, off offset:1124 ; 4-byte Folded Spill
	ds_store_b128 v16, v[100:103] offset:288
	v_mad_u16 v16, v28, 27, v29
	v_fma_f64 v[134:135], v[138:139], s[12:13], v[146:147]
	v_fma_f64 v[138:139], v[138:139], s[2:3], v[146:147]
	s_delay_alu instid0(VALU_DEP_3) | instskip(NEXT) | instid1(VALU_DEP_1)
	v_and_b32_e32 v16, 0xffff, v16
	v_lshlrev_b32_e32 v16, 4, v16
	ds_store_b128 v16, v[104:107]
	ds_store_b128 v16, v[108:111] offset:144
	scratch_store_b32 off, v16, off offset:1056 ; 4-byte Folded Spill
	ds_store_b128 v16, v[112:115] offset:288
	v_mad_u16 v16, v30, 27, v31
	s_delay_alu instid0(VALU_DEP_1) | instskip(NEXT) | instid1(VALU_DEP_1)
	v_and_b32_e32 v16, 0xffff, v16
	v_lshlrev_b32_e32 v16, 4, v16
	ds_store_b128 v16, v[116:119]
	ds_store_b128 v16, v[120:123] offset:144
	scratch_store_b32 off, v16, off offset:1020 ; 4-byte Folded Spill
	ds_store_b128 v16, v[124:127] offset:288
	v_mad_u16 v16, v148, 27, v149
	s_delay_alu instid0(VALU_DEP_1) | instskip(NEXT) | instid1(VALU_DEP_1)
	v_and_b32_e32 v16, 0xffff, v16
	v_lshlrev_b32_e32 v16, 4, v16
	ds_store_b128 v16, v[128:131]
	ds_store_b128 v16, v[132:135] offset:144
	scratch_store_b32 off, v16, off offset:984 ; 4-byte Folded Spill
	ds_store_b128 v16, v[136:139] offset:288
	v_mul_lo_u16 v16, v14, 27
	global_wb scope:SCOPE_SE
	s_wait_storecnt_dscnt 0x0
	s_barrier_signal -1
	s_barrier_wait -1
	global_inv scope:SCOPE_SE
	v_sub_nc_u16 v16, v142, v16
	ds_load_b128 v[17:20], v140 offset:9072
	v_mul_lo_u16 v14, 0x51, v14
	ds_load_b128 v[128:131], v140 offset:7056
	ds_load_b128 v[148:151], v140 offset:8064
	v_and_b32_e32 v16, 0xff, v16
	v_and_b32_e32 v14, 0xff, v14
	s_delay_alu instid0(VALU_DEP_2) | instskip(NEXT) | instid1(VALU_DEP_2)
	v_lshlrev_b32_e32 v23, 5, v16
	v_add_lshl_u32 v14, v14, v16, 4
	global_load_b128 v[24:27], v23, s[10:11] offset:384
	s_wait_loadcnt_dscnt 0x2
	v_mul_f64_e32 v[21:22], v[19:20], v[26:27]
	scratch_store_b128 off, v[24:27], off offset:952 ; 16-byte Folded Spill
	v_fma_f64 v[34:35], v[17:18], v[24:25], -v[21:22]
	v_mul_f64_e32 v[17:18], v[17:18], v[26:27]
	s_delay_alu instid0(VALU_DEP_1)
	v_fma_f64 v[36:37], v[19:20], v[24:25], v[17:18]
	global_load_b128 v[23:26], v23, s[10:11] offset:400
	ds_load_b128 v[17:20], v140 offset:18144
	s_wait_loadcnt_dscnt 0x0
	v_mul_f64_e32 v[21:22], v[19:20], v[25:26]
	scratch_store_b128 off, v[23:26], off offset:988 ; 16-byte Folded Spill
	v_fma_f64 v[38:39], v[17:18], v[23:24], -v[21:22]
	v_mul_f64_e32 v[17:18], v[17:18], v[25:26]
	s_delay_alu instid0(VALU_DEP_1) | instskip(SKIP_3) | instid1(VALU_DEP_1)
	v_fma_f64 v[40:41], v[19:20], v[23:24], v[17:18]
	v_mul_lo_u16 v17, v15, 27
	ds_load_b128 v[18:21], v140 offset:10080
	v_sub_nc_u16 v17, v6, v17
	v_and_b32_e32 v17, 0xff, v17
	s_delay_alu instid0(VALU_DEP_1)
	v_lshlrev_b32_e32 v24, 5, v17
	global_load_b128 v[25:28], v24, s[10:11] offset:384
	s_wait_loadcnt_dscnt 0x0
	v_mul_f64_e32 v[22:23], v[20:21], v[27:28]
	scratch_store_b128 off, v[25:28], off offset:1004 ; 16-byte Folded Spill
	v_fma_f64 v[46:47], v[18:19], v[25:26], -v[22:23]
	v_mul_f64_e32 v[18:19], v[18:19], v[27:28]
	s_delay_alu instid0(VALU_DEP_1)
	v_fma_f64 v[48:49], v[20:21], v[25:26], v[18:19]
	global_load_b128 v[24:27], v24, s[10:11] offset:400
	ds_load_b128 v[18:21], v140 offset:19152
	s_wait_loadcnt_dscnt 0x0
	v_mul_f64_e32 v[22:23], v[20:21], v[26:27]
	scratch_store_b128 off, v[24:27], off offset:1040 ; 16-byte Folded Spill
	v_fma_f64 v[50:51], v[18:19], v[24:25], -v[22:23]
	v_mul_f64_e32 v[18:19], v[18:19], v[26:27]
	s_delay_alu instid0(VALU_DEP_1) | instskip(SKIP_3) | instid1(VALU_DEP_1)
	v_fma_f64 v[52:53], v[20:21], v[24:25], v[18:19]
	v_mul_lo_u16 v18, v13, 19
	ds_load_b128 v[20:23], v140 offset:11088
	v_lshrrev_b16 v18, 9, v18
	v_mul_lo_u16 v19, v18, 27
	s_delay_alu instid0(VALU_DEP_1) | instskip(NEXT) | instid1(VALU_DEP_1)
	v_sub_nc_u16 v19, v5, v19
	v_and_b32_e32 v19, 0xff, v19
	s_delay_alu instid0(VALU_DEP_1)
	v_lshlrev_b32_e32 v26, 5, v19
	global_load_b128 v[27:30], v26, s[10:11] offset:384
	s_wait_loadcnt_dscnt 0x0
	v_mul_f64_e32 v[24:25], v[22:23], v[29:30]
	scratch_store_b128 off, v[27:30], off offset:1060 ; 16-byte Folded Spill
	v_fma_f64 v[58:59], v[20:21], v[27:28], -v[24:25]
	v_mul_f64_e32 v[20:21], v[20:21], v[29:30]
	s_delay_alu instid0(VALU_DEP_1)
	v_fma_f64 v[60:61], v[22:23], v[27:28], v[20:21]
	global_load_b128 v[26:29], v26, s[10:11] offset:400
	ds_load_b128 v[20:23], v140 offset:20160
	s_wait_loadcnt_dscnt 0x0
	v_mul_f64_e32 v[24:25], v[22:23], v[28:29]
	scratch_store_b128 off, v[26:29], off offset:1092 ; 16-byte Folded Spill
	v_fma_f64 v[62:63], v[20:21], v[26:27], -v[24:25]
	v_mul_f64_e32 v[20:21], v[20:21], v[28:29]
	s_delay_alu instid0(VALU_DEP_2) | instskip(NEXT) | instid1(VALU_DEP_2)
	v_add_f64_e32 v[66:67], v[58:59], v[62:63]
	v_fma_f64 v[64:65], v[22:23], v[26:27], v[20:21]
	v_mul_lo_u16 v20, v12, 19
	ds_load_b128 v[22:25], v140 offset:12096
	v_lshrrev_b16 v20, 9, v20
	s_delay_alu instid0(VALU_DEP_1) | instskip(NEXT) | instid1(VALU_DEP_1)
	v_mul_lo_u16 v21, v20, 27
	v_sub_nc_u16 v21, v143, v21
	s_delay_alu instid0(VALU_DEP_1) | instskip(NEXT) | instid1(VALU_DEP_1)
	v_and_b32_e32 v21, 0xff, v21
	v_lshlrev_b32_e32 v28, 5, v21
	global_load_b128 v[29:32], v28, s[10:11] offset:384
	v_add_f64_e32 v[68:69], v[60:61], v[64:65]
	s_wait_loadcnt_dscnt 0x0
	v_mul_f64_e32 v[26:27], v[24:25], v[31:32]
	scratch_store_b128 off, v[29:32], off offset:1128 ; 16-byte Folded Spill
	v_fma_f64 v[70:71], v[22:23], v[29:30], -v[26:27]
	v_mul_f64_e32 v[22:23], v[22:23], v[31:32]
	s_delay_alu instid0(VALU_DEP_1)
	v_fma_f64 v[72:73], v[24:25], v[29:30], v[22:23]
	global_load_b128 v[28:31], v28, s[10:11] offset:400
	ds_load_b128 v[22:25], v140 offset:21168
	s_wait_loadcnt_dscnt 0x0
	v_mul_f64_e32 v[26:27], v[24:25], v[30:31]
	scratch_store_b128 off, v[28:31], off offset:1144 ; 16-byte Folded Spill
	v_fma_f64 v[74:75], v[22:23], v[28:29], -v[26:27]
	v_mul_f64_e32 v[22:23], v[22:23], v[30:31]
	s_delay_alu instid0(VALU_DEP_2) | instskip(NEXT) | instid1(VALU_DEP_2)
	v_add_f64_e32 v[78:79], v[70:71], v[74:75]
	v_fma_f64 v[76:77], v[24:25], v[28:29], v[22:23]
	v_mul_u32_u24_e32 v22, 0x2f69, v11
	s_delay_alu instid0(VALU_DEP_1) | instskip(NEXT) | instid1(VALU_DEP_1)
	v_lshrrev_b32_e32 v22, 16, v22
	v_sub_nc_u16 v23, v4, v22
	s_delay_alu instid0(VALU_DEP_1) | instskip(NEXT) | instid1(VALU_DEP_1)
	v_lshrrev_b16 v23, 1, v23
	v_add_nc_u16 v22, v23, v22
	s_delay_alu instid0(VALU_DEP_1) | instskip(NEXT) | instid1(VALU_DEP_1)
	v_lshrrev_b16 v22, 4, v22
	v_mul_lo_u16 v23, v22, 27
	s_delay_alu instid0(VALU_DEP_1) | instskip(SKIP_1) | instid1(VALU_DEP_2)
	v_sub_nc_u16 v23, v4, v23
	v_add_f64_e32 v[80:81], v[72:73], v[76:77]
	v_lshlrev_b16 v24, 5, v23
	s_delay_alu instid0(VALU_DEP_1) | instskip(NEXT) | instid1(VALU_DEP_1)
	v_and_b32_e32 v24, 0xffff, v24
	v_add_co_u32 v28, s15, s10, v24
	s_wait_alu 0xf1ff
	v_add_co_ci_u32_e64 v29, null, s11, 0, s15
	ds_load_b128 v[24:27], v140 offset:13104
	global_load_b128 v[42:45], v[28:29], off offset:384
	s_wait_loadcnt_dscnt 0x0
	v_mul_f64_e32 v[30:31], v[26:27], v[44:45]
	s_delay_alu instid0(VALU_DEP_1)
	v_fma_f64 v[82:83], v[24:25], v[42:43], -v[30:31]
	global_load_b128 v[30:33], v[28:29], off offset:400
	v_mul_f64_e32 v[24:25], v[24:25], v[44:45]
	scratch_store_b128 off, v[42:45], off offset:1216 ; 16-byte Folded Spill
	v_fma_f64 v[84:85], v[26:27], v[42:43], v[24:25]
	ds_load_b128 v[24:27], v140 offset:22176
	s_wait_loadcnt 0x0
	scratch_store_b128 off, v[30:33], off offset:1236 ; 16-byte Folded Spill
	s_wait_dscnt 0x0
	v_mul_f64_e32 v[28:29], v[26:27], v[32:33]
	s_delay_alu instid0(VALU_DEP_1) | instskip(SKIP_1) | instid1(VALU_DEP_2)
	v_fma_f64 v[86:87], v[24:25], v[30:31], -v[28:29]
	v_mul_f64_e32 v[24:25], v[24:25], v[32:33]
	v_add_f64_e32 v[90:91], v[82:83], v[86:87]
	s_delay_alu instid0(VALU_DEP_2) | instskip(SKIP_1) | instid1(VALU_DEP_1)
	v_fma_f64 v[88:89], v[26:27], v[30:31], v[24:25]
	v_mul_u32_u24_e32 v24, 0x2f69, v10
	v_lshrrev_b32_e32 v24, 16, v24
	s_delay_alu instid0(VALU_DEP_1) | instskip(NEXT) | instid1(VALU_DEP_1)
	v_sub_nc_u16 v25, v3, v24
	v_lshrrev_b16 v25, 1, v25
	s_delay_alu instid0(VALU_DEP_1) | instskip(NEXT) | instid1(VALU_DEP_1)
	v_add_nc_u16 v24, v25, v24
	v_lshrrev_b16 v24, 4, v24
	s_delay_alu instid0(VALU_DEP_1) | instskip(NEXT) | instid1(VALU_DEP_1)
	v_mul_lo_u16 v25, v24, 27
	v_sub_nc_u16 v25, v3, v25
	v_add_f64_e32 v[92:93], v[84:85], v[88:89]
	s_delay_alu instid0(VALU_DEP_2) | instskip(NEXT) | instid1(VALU_DEP_1)
	v_lshlrev_b16 v26, 5, v25
	v_and_b32_e32 v26, 0xffff, v26
	s_delay_alu instid0(VALU_DEP_1)
	v_add_co_u32 v30, s15, s10, v26
	s_wait_alu 0xf1ff
	v_add_co_ci_u32_e64 v31, null, s11, 0, s15
	ds_load_b128 v[26:29], v140 offset:14112
	global_load_b128 v[42:45], v[30:31], off offset:384
	s_wait_loadcnt_dscnt 0x0
	v_mul_f64_e32 v[32:33], v[28:29], v[44:45]
	scratch_store_b128 off, v[42:45], off offset:1356 ; 16-byte Folded Spill
	v_fma_f64 v[94:95], v[26:27], v[42:43], -v[32:33]
	v_mul_f64_e32 v[26:27], v[26:27], v[44:45]
	s_delay_alu instid0(VALU_DEP_1) | instskip(SKIP_4) | instid1(VALU_DEP_1)
	v_fma_f64 v[96:97], v[28:29], v[42:43], v[26:27]
	global_load_b128 v[42:45], v[30:31], off offset:400
	ds_load_b128 v[26:29], v140 offset:23184
	s_wait_loadcnt_dscnt 0x0
	v_mul_f64_e32 v[30:31], v[28:29], v[44:45]
	v_fma_f64 v[98:99], v[26:27], v[42:43], -v[30:31]
	v_mul_f64_e32 v[26:27], v[26:27], v[44:45]
	s_delay_alu instid0(VALU_DEP_2) | instskip(NEXT) | instid1(VALU_DEP_2)
	v_add_f64_e32 v[102:103], v[94:95], v[98:99]
	v_fma_f64 v[100:101], v[28:29], v[42:43], v[26:27]
	v_mul_u32_u24_e32 v26, 0x2f69, v9
	s_delay_alu instid0(VALU_DEP_1) | instskip(NEXT) | instid1(VALU_DEP_1)
	v_lshrrev_b32_e32 v26, 16, v26
	v_sub_nc_u16 v27, v2, v26
	s_delay_alu instid0(VALU_DEP_1) | instskip(NEXT) | instid1(VALU_DEP_1)
	v_lshrrev_b16 v27, 1, v27
	v_add_nc_u16 v26, v27, v26
	s_delay_alu instid0(VALU_DEP_1) | instskip(NEXT) | instid1(VALU_DEP_1)
	v_lshrrev_b16 v26, 4, v26
	v_mul_lo_u16 v27, v26, 27
	s_delay_alu instid0(VALU_DEP_1) | instskip(SKIP_1) | instid1(VALU_DEP_2)
	v_sub_nc_u16 v27, v2, v27
	v_add_f64_e32 v[104:105], v[96:97], v[100:101]
	v_lshlrev_b16 v28, 5, v27
	s_delay_alu instid0(VALU_DEP_1) | instskip(NEXT) | instid1(VALU_DEP_1)
	v_and_b32_e32 v28, 0xffff, v28
	v_add_co_u32 v32, s15, s10, v28
	s_wait_alu 0xf1ff
	v_add_co_ci_u32_e64 v33, null, s11, 0, s15
	ds_load_b128 v[28:31], v140 offset:15120
	global_load_b128 v[54:57], v[32:33], off offset:384
	scratch_store_b128 off, v[42:45], off offset:1392 ; 16-byte Folded Spill
	s_wait_loadcnt 0x0
	scratch_store_b128 off, v[54:57], off offset:1492 ; 16-byte Folded Spill
	s_wait_dscnt 0x0
	v_mul_f64_e32 v[42:43], v[30:31], v[56:57]
	s_delay_alu instid0(VALU_DEP_1) | instskip(SKIP_2) | instid1(VALU_DEP_1)
	v_fma_f64 v[106:107], v[28:29], v[54:55], -v[42:43]
	global_load_b128 v[42:45], v[32:33], off offset:400
	v_mul_f64_e32 v[28:29], v[28:29], v[56:57]
	v_fma_f64 v[108:109], v[30:31], v[54:55], v[28:29]
	ds_load_b128 v[28:31], v140 offset:24192
	s_wait_loadcnt_dscnt 0x0
	v_mul_f64_e32 v[32:33], v[30:31], v[44:45]
	scratch_store_b128 off, v[42:45], off offset:1564 ; 16-byte Folded Spill
	v_fma_f64 v[110:111], v[28:29], v[42:43], -v[32:33]
	v_mul_f64_e32 v[28:29], v[28:29], v[44:45]
	s_delay_alu instid0(VALU_DEP_2) | instskip(NEXT) | instid1(VALU_DEP_2)
	v_add_f64_e32 v[114:115], v[106:107], v[110:111]
	v_fma_f64 v[112:113], v[30:31], v[42:43], v[28:29]
	v_mul_u32_u24_e32 v28, 0x2f69, v8
	s_delay_alu instid0(VALU_DEP_1) | instskip(NEXT) | instid1(VALU_DEP_1)
	v_lshrrev_b32_e32 v28, 16, v28
	v_sub_nc_u16 v29, v1, v28
	s_delay_alu instid0(VALU_DEP_1) | instskip(NEXT) | instid1(VALU_DEP_1)
	v_lshrrev_b16 v29, 1, v29
	v_add_nc_u16 v28, v29, v28
	s_delay_alu instid0(VALU_DEP_1) | instskip(NEXT) | instid1(VALU_DEP_1)
	v_lshrrev_b16 v28, 4, v28
	v_mul_lo_u16 v29, v28, 27
	s_delay_alu instid0(VALU_DEP_1) | instskip(SKIP_1) | instid1(VALU_DEP_2)
	v_sub_nc_u16 v29, v1, v29
	v_add_f64_e32 v[116:117], v[108:109], v[112:113]
	v_lshlrev_b16 v30, 5, v29
	s_delay_alu instid0(VALU_DEP_1) | instskip(NEXT) | instid1(VALU_DEP_1)
	v_and_b32_e32 v30, 0xffff, v30
	v_add_co_u32 v42, s15, s10, v30
	s_wait_alu 0xf1ff
	v_add_co_ci_u32_e64 v43, null, s11, 0, s15
	ds_load_b128 v[30:33], v140 offset:16128
	global_load_b128 v[54:57], v[42:43], off offset:384
	s_wait_loadcnt_dscnt 0x0
	v_mul_f64_e32 v[44:45], v[32:33], v[56:57]
	scratch_store_b128 off, v[54:57], off offset:1652 ; 16-byte Folded Spill
	v_fma_f64 v[124:125], v[30:31], v[54:55], -v[44:45]
	v_mul_f64_e32 v[30:31], v[30:31], v[56:57]
	s_delay_alu instid0(VALU_DEP_1)
	v_fma_f64 v[126:127], v[32:33], v[54:55], v[30:31]
	global_load_b128 v[54:57], v[42:43], off offset:400
	ds_load_b128 v[30:33], v140 offset:25200
	s_wait_loadcnt_dscnt 0x0
	v_mul_f64_e32 v[42:43], v[32:33], v[56:57]
	scratch_store_b128 off, v[54:57], off offset:1636 ; 16-byte Folded Spill
	v_fma_f64 v[132:133], v[30:31], v[54:55], -v[42:43]
	v_mul_f64_e32 v[30:31], v[30:31], v[56:57]
	s_delay_alu instid0(VALU_DEP_1) | instskip(SKIP_1) | instid1(VALU_DEP_1)
	v_fma_f64 v[134:135], v[32:33], v[54:55], v[30:31]
	v_mul_u32_u24_e32 v30, 0x2f69, v7
	v_lshrrev_b32_e32 v30, 16, v30
	s_delay_alu instid0(VALU_DEP_1) | instskip(NEXT) | instid1(VALU_DEP_1)
	v_sub_nc_u16 v31, v0, v30
	v_lshrrev_b16 v31, 1, v31
	s_delay_alu instid0(VALU_DEP_1) | instskip(NEXT) | instid1(VALU_DEP_1)
	v_add_nc_u16 v30, v31, v30
	v_lshrrev_b16 v120, 4, v30
	s_delay_alu instid0(VALU_DEP_1) | instskip(NEXT) | instid1(VALU_DEP_1)
	v_mul_lo_u16 v30, v120, 27
	v_sub_nc_u16 v121, v0, v30
	s_delay_alu instid0(VALU_DEP_1) | instskip(NEXT) | instid1(VALU_DEP_1)
	v_lshlrev_b16 v30, 5, v121
	v_and_b32_e32 v30, 0xffff, v30
	s_delay_alu instid0(VALU_DEP_1)
	v_add_co_u32 v42, s15, s10, v30
	s_wait_alu 0xf1ff
	v_add_co_ci_u32_e64 v43, null, s11, 0, s15
	ds_load_b128 v[30:33], v140 offset:17136
	global_load_b128 v[54:57], v[42:43], off offset:384
	s_wait_loadcnt_dscnt 0x0
	v_mul_f64_e32 v[44:45], v[32:33], v[56:57]
	scratch_store_b128 off, v[54:57], off offset:1724 ; 16-byte Folded Spill
	v_fma_f64 v[156:157], v[30:31], v[54:55], -v[44:45]
	v_mul_f64_e32 v[30:31], v[30:31], v[56:57]
	v_add_f64_e32 v[44:45], v[36:37], v[40:41]
	s_delay_alu instid0(VALU_DEP_2)
	v_fma_f64 v[158:159], v[32:33], v[54:55], v[30:31]
	global_load_b128 v[54:57], v[42:43], off offset:400
	ds_load_b128 v[30:33], v140 offset:26208
	s_wait_loadcnt_dscnt 0x0
	v_mul_f64_e32 v[42:43], v[32:33], v[56:57]
	scratch_store_b128 off, v[54:57], off offset:1684 ; 16-byte Folded Spill
	v_fma_f64 v[160:161], v[30:31], v[54:55], -v[42:43]
	v_mul_f64_e32 v[30:31], v[30:31], v[56:57]
	v_add_f64_e32 v[42:43], v[34:35], v[38:39]
	v_add_f64_e32 v[56:57], v[48:49], v[52:53]
	s_delay_alu instid0(VALU_DEP_3)
	v_fma_f64 v[162:163], v[32:33], v[54:55], v[30:31]
	ds_load_b128 v[30:33], v140
	v_add_f64_e32 v[54:55], v[46:47], v[50:51]
	s_wait_dscnt 0x0
	v_fma_f64 v[44:45], v[44:45], -0.5, v[32:33]
	v_add_f64_e32 v[32:33], v[32:33], v[36:37]
	v_fma_f64 v[42:43], v[42:43], -0.5, v[30:31]
	v_add_f64_e32 v[30:31], v[30:31], v[34:35]
	v_add_f64_e64 v[36:37], v[36:37], -v[40:41]
	s_delay_alu instid0(VALU_DEP_4) | instskip(SKIP_1) | instid1(VALU_DEP_4)
	v_add_f64_e32 v[32:33], v[32:33], v[40:41]
	v_add_f64_e64 v[40:41], v[34:35], -v[38:39]
	v_add_f64_e32 v[30:31], v[30:31], v[38:39]
	s_delay_alu instid0(VALU_DEP_4) | instskip(SKIP_1) | instid1(VALU_DEP_4)
	v_fma_f64 v[34:35], v[36:37], s[2:3], v[42:43]
	v_fma_f64 v[38:39], v[36:37], s[12:13], v[42:43]
	v_fma_f64 v[36:37], v[40:41], s[12:13], v[44:45]
	v_fma_f64 v[40:41], v[40:41], s[2:3], v[44:45]
	ds_load_b128 v[42:45], v140 offset:1008
	s_wait_dscnt 0x0
	v_fma_f64 v[56:57], v[56:57], -0.5, v[44:45]
	v_add_f64_e32 v[44:45], v[44:45], v[48:49]
	v_fma_f64 v[54:55], v[54:55], -0.5, v[42:43]
	v_add_f64_e32 v[42:43], v[42:43], v[46:47]
	v_add_f64_e64 v[48:49], v[48:49], -v[52:53]
	s_delay_alu instid0(VALU_DEP_4) | instskip(SKIP_1) | instid1(VALU_DEP_4)
	v_add_f64_e32 v[44:45], v[44:45], v[52:53]
	v_add_f64_e64 v[52:53], v[46:47], -v[50:51]
	v_add_f64_e32 v[42:43], v[42:43], v[50:51]
	s_delay_alu instid0(VALU_DEP_4) | instskip(SKIP_1) | instid1(VALU_DEP_4)
	v_fma_f64 v[46:47], v[48:49], s[2:3], v[54:55]
	v_fma_f64 v[50:51], v[48:49], s[12:13], v[54:55]
	v_fma_f64 v[48:49], v[52:53], s[12:13], v[56:57]
	v_fma_f64 v[52:53], v[52:53], s[2:3], v[56:57]
	ds_load_b128 v[54:57], v140 offset:2016
	;; [unrolled: 16-line block ×6, first 2 shown]
	global_wb scope:SCOPE_SE
	s_wait_storecnt_dscnt 0x0
	s_barrier_signal -1
	s_barrier_wait -1
	global_inv scope:SCOPE_SE
	ds_store_b128 v14, v[30:33]
	ds_store_b128 v14, v[34:37] offset:432
	scratch_store_b32 off, v14, off offset:1700 ; 4-byte Folded Spill
	ds_store_b128 v14, v[38:41] offset:864
	v_and_b32_e32 v14, 0xffff, v15
	s_delay_alu instid0(VALU_DEP_1) | instskip(NEXT) | instid1(VALU_DEP_1)
	v_mul_u32_u24_e32 v14, 0x51, v14
	v_add_lshl_u32 v14, v14, v17, 4
	ds_store_b128 v14, v[42:45]
	ds_store_b128 v14, v[46:49] offset:432
	v_fma_f64 v[114:115], v[114:115], -0.5, v[102:103]
	v_fma_f64 v[118:119], v[116:117], -0.5, v[104:105]
	v_add_f64_e32 v[104:105], v[104:105], v[108:109]
	v_add_f64_e32 v[102:103], v[102:103], v[106:107]
	v_add_f64_e64 v[108:109], v[108:109], -v[112:113]
	v_add_f64_e64 v[106:107], v[106:107], -v[110:111]
	scratch_store_b32 off, v14, off offset:1632 ; 4-byte Folded Spill
	ds_store_b128 v14, v[50:53] offset:864
	v_and_b32_e32 v14, 0xffff, v18
	s_delay_alu instid0(VALU_DEP_1) | instskip(NEXT) | instid1(VALU_DEP_1)
	v_mul_u32_u24_e32 v14, 0x51, v14
	v_add_lshl_u32 v14, v14, v19, 4
	ds_store_b128 v14, v[54:57]
	ds_store_b128 v14, v[58:61] offset:432
	scratch_store_b32 off, v14, off offset:1612 ; 4-byte Folded Spill
	ds_store_b128 v14, v[62:65] offset:864
	v_and_b32_e32 v14, 0xffff, v20
	v_lshlrev_b32_e32 v20, 5, v141
	s_delay_alu instid0(VALU_DEP_2) | instskip(NEXT) | instid1(VALU_DEP_1)
	v_mul_u32_u24_e32 v14, 0x51, v14
	v_add_lshl_u32 v14, v14, v21, 4
	ds_store_b128 v14, v[66:69]
	ds_store_b128 v14, v[70:73] offset:432
	v_add_f64_e32 v[104:105], v[104:105], v[112:113]
	v_add_f64_e32 v[102:103], v[102:103], v[110:111]
	v_fma_f64 v[112:113], v[108:109], s[2:3], v[114:115]
	v_fma_f64 v[116:117], v[108:109], s[12:13], v[114:115]
	;; [unrolled: 1-line block ×4, first 2 shown]
	v_add_f64_e32 v[106:107], v[124:125], v[132:133]
	v_add_f64_e32 v[108:109], v[126:127], v[134:135]
	;; [unrolled: 1-line block ×3, first 2 shown]
	v_add_f64_e64 v[126:127], v[126:127], -v[134:135]
	scratch_store_b32 off, v14, off offset:1560 ; 4-byte Folded Spill
	ds_store_b128 v14, v[74:77] offset:864
	v_mad_u16 v14, 0x51, v22, v23
	s_delay_alu instid0(VALU_DEP_1) | instskip(NEXT) | instid1(VALU_DEP_1)
	v_and_b32_e32 v14, 0xffff, v14
	v_lshlrev_b32_e32 v14, 4, v14
	ds_store_b128 v14, v[78:81]
	ds_store_b128 v14, v[82:85] offset:432
	scratch_store_b32 off, v14, off offset:1488 ; 4-byte Folded Spill
	ds_store_b128 v14, v[86:89] offset:864
	v_mad_u16 v14, 0x51, v24, v25
	s_delay_alu instid0(VALU_DEP_1) | instskip(NEXT) | instid1(VALU_DEP_1)
	v_and_b32_e32 v14, 0xffff, v14
	v_lshlrev_b32_e32 v14, 4, v14
	ds_store_b128 v14, v[90:93]
	ds_store_b128 v14, v[94:97] offset:432
	v_fma_f64 v[106:107], v[106:107], -0.5, v[128:129]
	v_fma_f64 v[108:109], v[108:109], -0.5, v[130:131]
	v_add_f64_e32 v[128:129], v[128:129], v[124:125]
	v_add_f64_e32 v[130:131], v[110:111], v[134:135]
	v_add_f64_e64 v[110:111], v[124:125], -v[132:133]
	v_add_f64_e32 v[124:125], v[148:149], v[156:157]
	scratch_store_b32 off, v14, off offset:1428 ; 4-byte Folded Spill
	ds_store_b128 v14, v[98:101] offset:864
	v_mad_u16 v14, 0x51, v26, v27
	s_delay_alu instid0(VALU_DEP_1) | instskip(NEXT) | instid1(VALU_DEP_1)
	v_and_b32_e32 v14, 0xffff, v14
	v_lshlrev_b32_e32 v14, 4, v14
	ds_store_b128 v14, v[102:105]
	ds_store_b128 v14, v[112:115] offset:432
	scratch_store_b32 off, v14, off offset:1388 ; 4-byte Folded Spill
	ds_store_b128 v14, v[116:119] offset:864
	v_mad_u16 v14, 0x51, v28, v29
	s_delay_alu instid0(VALU_DEP_1) | instskip(NEXT) | instid1(VALU_DEP_1)
	v_and_b32_e32 v14, 0xffff, v14
	v_lshlrev_b32_e32 v14, 4, v14
	v_fma_f64 v[136:137], v[126:127], s[12:13], v[106:107]
	v_add_f64_e32 v[128:129], v[128:129], v[132:133]
	v_fma_f64 v[132:133], v[126:127], s[2:3], v[106:107]
	v_fma_f64 v[134:135], v[110:111], s[12:13], v[108:109]
	;; [unrolled: 1-line block ×3, first 2 shown]
	v_add_f64_e32 v[106:107], v[156:157], v[160:161]
	v_add_f64_e32 v[108:109], v[158:159], v[162:163]
	v_add_f64_e32 v[110:111], v[150:151], v[158:159]
	v_add_f64_e64 v[126:127], v[158:159], -v[162:163]
	ds_store_b128 v14, v[128:131]
	ds_store_b128 v14, v[132:135] offset:432
	scratch_store_b32 off, v14, off offset:1284 ; 4-byte Folded Spill
	ds_store_b128 v14, v[136:139] offset:864
	v_fma_f64 v[106:107], v[106:107], -0.5, v[148:149]
	v_fma_f64 v[108:109], v[108:109], -0.5, v[150:151]
	v_add_f64_e32 v[150:151], v[110:111], v[162:163]
	v_add_f64_e64 v[110:111], v[156:157], -v[160:161]
	v_add_f64_e32 v[148:149], v[124:125], v[160:161]
	v_mad_u16 v14, 0x51, v120, v121
	s_delay_alu instid0(VALU_DEP_1) | instskip(NEXT) | instid1(VALU_DEP_1)
	v_and_b32_e32 v14, 0xffff, v14
	v_lshlrev_b32_e32 v14, 4, v14
	v_fma_f64 v[160:161], v[126:127], s[12:13], v[106:107]
	v_fma_f64 v[156:157], v[126:127], s[2:3], v[106:107]
	;; [unrolled: 1-line block ×4, first 2 shown]
	ds_store_b128 v14, v[148:151]
	ds_store_b128 v14, v[156:159] offset:432
	scratch_store_b32 off, v14, off offset:1288 ; 4-byte Folded Spill
	ds_store_b128 v14, v[160:163] offset:864
	global_wb scope:SCOPE_SE
	s_wait_storecnt_dscnt 0x0
	s_barrier_signal -1
	s_barrier_wait -1
	global_inv scope:SCOPE_SE
	global_load_b128 v[21:24], v20, s[10:11] offset:1248
	ds_load_b128 v[14:17], v140 offset:9072
	s_wait_loadcnt_dscnt 0x0
	v_mul_f64_e32 v[18:19], v[16:17], v[23:24]
	scratch_store_b128 off, v[21:24], off offset:1108 ; 16-byte Folded Spill
	v_fma_f64 v[32:33], v[14:15], v[21:22], -v[18:19]
	v_mul_f64_e32 v[14:15], v[14:15], v[23:24]
	s_delay_alu instid0(VALU_DEP_1)
	v_fma_f64 v[28:29], v[16:17], v[21:22], v[14:15]
	global_load_b128 v[20:23], v20, s[10:11] offset:1264
	ds_load_b128 v[14:17], v140 offset:18144
	s_wait_loadcnt_dscnt 0x0
	v_mul_f64_e32 v[18:19], v[16:17], v[22:23]
	scratch_store_b128 off, v[20:23], off offset:1180 ; 16-byte Folded Spill
	v_fma_f64 v[34:35], v[14:15], v[20:21], -v[18:19]
	v_mul_f64_e32 v[14:15], v[14:15], v[22:23]
	s_delay_alu instid0(VALU_DEP_1) | instskip(SKIP_1) | instid1(VALU_DEP_1)
	v_fma_f64 v[30:31], v[16:17], v[20:21], v[14:15]
	v_add_co_u32 v14, s15, 0xffffffee, v141
	v_cndmask_b32_e32 v16, v14, v6, vcc_lo
	v_add_co_ci_u32_e64 v6, null, 0, 0, s14
	s_wait_alu 0xf1ff
	v_add_co_ci_u32_e64 v14, null, 0, -1, s15
	s_delay_alu instid0(VALU_DEP_1) | instskip(SKIP_1) | instid1(VALU_DEP_2)
	v_cndmask_b32_e32 v17, v14, v6, vcc_lo
	v_mul_lo_u16 v6, 0xcb, v13
	v_lshlrev_b64_e32 v[14:15], 5, v[16:17]
	ds_load_b128 v[17:20], v140 offset:10080
	v_add_co_u32 v14, vcc_lo, s10, v14
	s_wait_alu 0xfffd
	v_add_co_ci_u32_e32 v15, vcc_lo, s11, v15, vcc_lo
	v_cmp_lt_u16_e64 vcc_lo, 17, v142
	global_load_b128 v[23:26], v[14:15], off offset:1248
	s_wait_loadcnt_dscnt 0x0
	v_mul_f64_e32 v[21:22], v[19:20], v[25:26]
	scratch_store_b128 off, v[23:26], off offset:1268 ; 16-byte Folded Spill
	v_fma_f64 v[44:45], v[17:18], v[23:24], -v[21:22]
	v_mul_f64_e32 v[17:18], v[17:18], v[25:26]
	s_delay_alu instid0(VALU_DEP_1)
	v_fma_f64 v[40:41], v[19:20], v[23:24], v[17:18]
	global_load_b128 v[21:24], v[14:15], off offset:1264
	ds_load_b128 v[17:20], v140 offset:19152
	s_wait_loadcnt_dscnt 0x0
	v_mul_f64_e32 v[14:15], v[19:20], v[23:24]
	scratch_store_b128 off, v[21:24], off offset:1324 ; 16-byte Folded Spill
	v_fma_f64 v[46:47], v[17:18], v[21:22], -v[14:15]
	v_mul_f64_e32 v[14:15], v[17:18], v[23:24]
	v_lshrrev_b16 v17, 14, v6
	s_delay_alu instid0(VALU_DEP_1) | instskip(NEXT) | instid1(VALU_DEP_1)
	v_mul_lo_u16 v6, 0x51, v17
	v_sub_nc_u16 v5, v5, v6
	s_delay_alu instid0(VALU_DEP_1) | instskip(NEXT) | instid1(VALU_DEP_1)
	v_and_b32_e32 v18, 0xff, v5
	v_lshlrev_b32_e32 v13, 5, v18
	global_load_b128 v[23:26], v13, s[10:11] offset:1248
	v_fma_f64 v[42:43], v[19:20], v[21:22], v[14:15]
	ds_load_b128 v[19:22], v140 offset:11088
	s_wait_loadcnt_dscnt 0x0
	v_mul_f64_e32 v[5:6], v[21:22], v[25:26]
	scratch_store_b128 off, v[23:26], off offset:1252 ; 16-byte Folded Spill
	v_fma_f64 v[56:57], v[19:20], v[23:24], -v[5:6]
	v_mul_f64_e32 v[5:6], v[19:20], v[25:26]
	s_delay_alu instid0(VALU_DEP_1)
	v_fma_f64 v[52:53], v[21:22], v[23:24], v[5:6]
	global_load_b128 v[23:26], v13, s[10:11] offset:1264
	ds_load_b128 v[19:22], v140 offset:20160
	s_wait_loadcnt_dscnt 0x0
	v_mul_f64_e32 v[5:6], v[21:22], v[25:26]
	scratch_store_b128 off, v[23:26], off offset:1308 ; 16-byte Folded Spill
	v_fma_f64 v[58:59], v[19:20], v[23:24], -v[5:6]
	v_mul_f64_e32 v[5:6], v[19:20], v[25:26]
	s_delay_alu instid0(VALU_DEP_1) | instskip(SKIP_3) | instid1(VALU_DEP_1)
	v_fma_f64 v[54:55], v[21:22], v[23:24], v[5:6]
	v_mul_lo_u16 v5, 0xcb, v12
	ds_load_b128 v[12:15], v140 offset:12096
	v_lshrrev_b16 v19, 14, v5
	v_mul_lo_u16 v5, 0x51, v19
	s_delay_alu instid0(VALU_DEP_1) | instskip(NEXT) | instid1(VALU_DEP_1)
	v_sub_nc_u16 v5, v143, v5
	v_and_b32_e32 v20, 0xff, v5
	s_delay_alu instid0(VALU_DEP_1)
	v_lshlrev_b32_e32 v21, 5, v20
	global_load_b128 v[22:25], v21, s[10:11] offset:1248
	v_add_f64_e32 v[60:61], v[52:53], v[54:55]
	s_wait_loadcnt_dscnt 0x0
	v_mul_f64_e32 v[5:6], v[14:15], v[24:25]
	scratch_store_b128 off, v[22:25], off offset:1372 ; 16-byte Folded Spill
	v_fma_f64 v[68:69], v[12:13], v[22:23], -v[5:6]
	v_mul_f64_e32 v[5:6], v[12:13], v[24:25]
	s_delay_alu instid0(VALU_DEP_1)
	v_fma_f64 v[64:65], v[14:15], v[22:23], v[5:6]
	global_load_b128 v[21:24], v21, s[10:11] offset:1264
	ds_load_b128 v[12:15], v140 offset:21168
	s_wait_loadcnt_dscnt 0x0
	v_mul_f64_e32 v[5:6], v[14:15], v[23:24]
	scratch_store_b128 off, v[21:24], off offset:1432 ; 16-byte Folded Spill
	v_fma_f64 v[70:71], v[12:13], v[21:22], -v[5:6]
	v_mul_f64_e32 v[5:6], v[12:13], v[23:24]
	s_delay_alu instid0(VALU_DEP_1) | instskip(SKIP_3) | instid1(VALU_DEP_1)
	v_fma_f64 v[66:67], v[14:15], v[21:22], v[5:6]
	v_mul_u32_u24_e32 v5, 0x6523, v11
	ds_load_b128 v[11:14], v140 offset:13104
	v_lshrrev_b32_e32 v5, 21, v5
	v_mul_lo_u16 v5, 0x51, v5
	s_delay_alu instid0(VALU_DEP_1) | instskip(NEXT) | instid1(VALU_DEP_1)
	v_sub_nc_u16 v21, v4, v5
	v_lshlrev_b16 v4, 5, v21
	s_delay_alu instid0(VALU_DEP_1) | instskip(NEXT) | instid1(VALU_DEP_1)
	v_and_b32_e32 v4, 0xffff, v4
	v_add_co_u32 v4, s14, s10, v4
	s_wait_alu 0xf1ff
	v_add_co_ci_u32_e64 v5, null, s11, 0, s14
	global_load_b128 v[24:27], v[4:5], off offset:1248
	v_add_f64_e32 v[72:73], v[64:65], v[66:67]
	s_wait_loadcnt_dscnt 0x0
	v_mul_f64_e32 v[22:23], v[13:14], v[26:27]
	scratch_store_b128 off, v[24:27], off offset:1536 ; 16-byte Folded Spill
	v_fma_f64 v[80:81], v[11:12], v[24:25], -v[22:23]
	v_mul_f64_e32 v[11:12], v[11:12], v[26:27]
	s_delay_alu instid0(VALU_DEP_1)
	v_fma_f64 v[76:77], v[13:14], v[24:25], v[11:12]
	global_load_b128 v[22:25], v[4:5], off offset:1264
	ds_load_b128 v[11:14], v140 offset:22176
	s_wait_loadcnt_dscnt 0x0
	v_mul_f64_e32 v[4:5], v[13:14], v[24:25]
	scratch_store_b128 off, v[22:25], off offset:1596 ; 16-byte Folded Spill
	v_fma_f64 v[82:83], v[11:12], v[22:23], -v[4:5]
	v_mul_f64_e32 v[4:5], v[11:12], v[24:25]
	s_delay_alu instid0(VALU_DEP_1) | instskip(SKIP_1) | instid1(VALU_DEP_1)
	v_fma_f64 v[11:12], v[13:14], v[22:23], v[4:5]
	v_mul_u32_u24_e32 v4, 0x6523, v10
	v_lshrrev_b32_e32 v22, 21, v4
	s_delay_alu instid0(VALU_DEP_1) | instskip(NEXT) | instid1(VALU_DEP_1)
	v_mul_lo_u16 v4, 0x51, v22
	v_sub_nc_u16 v23, v3, v4
	s_delay_alu instid0(VALU_DEP_1) | instskip(NEXT) | instid1(VALU_DEP_1)
	v_lshlrev_b16 v3, 5, v23
	v_and_b32_e32 v3, 0xffff, v3
	s_delay_alu instid0(VALU_DEP_1)
	v_add_co_u32 v13, s14, s10, v3
	s_wait_alu 0xf1ff
	v_add_co_ci_u32_e64 v14, null, s11, 0, s14
	ds_load_b128 v[3:6], v140 offset:14112
	s_clause 0x1
	global_load_b128 v[36:39], v[13:14], off offset:1248
	global_load_b128 v[156:159], v[13:14], off offset:1264
	v_add_f64_e32 v[78:79], v[76:77], v[11:12]
	v_add_f64_e64 v[84:85], v[76:77], -v[11:12]
	s_wait_loadcnt_dscnt 0x100
	v_mul_f64_e32 v[24:25], v[5:6], v[38:39]
	scratch_store_b128 off, v[36:39], off offset:1668 ; 16-byte Folded Spill
	v_fma_f64 v[92:93], v[3:4], v[36:37], -v[24:25]
	v_mul_f64_e32 v[3:4], v[3:4], v[38:39]
	s_delay_alu instid0(VALU_DEP_1) | instskip(SKIP_3) | instid1(VALU_DEP_1)
	v_fma_f64 v[88:89], v[5:6], v[36:37], v[3:4]
	ds_load_b128 v[3:6], v140 offset:23184
	s_wait_loadcnt_dscnt 0x0
	v_mul_f64_e32 v[13:14], v[5:6], v[158:159]
	v_fma_f64 v[13:14], v[3:4], v[156:157], -v[13:14]
	v_mul_f64_e32 v[3:4], v[3:4], v[158:159]
	s_delay_alu instid0(VALU_DEP_1) | instskip(SKIP_1) | instid1(VALU_DEP_1)
	v_fma_f64 v[90:91], v[5:6], v[156:157], v[3:4]
	v_mul_u32_u24_e32 v3, 0x6523, v9
	v_lshrrev_b32_e32 v24, 21, v3
	s_delay_alu instid0(VALU_DEP_1) | instskip(NEXT) | instid1(VALU_DEP_1)
	v_mul_lo_u16 v3, 0x51, v24
	v_sub_nc_u16 v25, v2, v3
	s_delay_alu instid0(VALU_DEP_1) | instskip(NEXT) | instid1(VALU_DEP_1)
	v_lshlrev_b16 v2, 5, v25
	v_and_b32_e32 v2, 0xffff, v2
	s_delay_alu instid0(VALU_DEP_1)
	v_add_co_u32 v9, s14, s10, v2
	s_wait_alu 0xf1ff
	v_add_co_ci_u32_e64 v10, null, s11, 0, s14
	ds_load_b128 v[2:5], v140 offset:15120
	global_load_b128 v[36:39], v[9:10], off offset:1248
	v_add_f64_e64 v[94:95], v[88:89], -v[90:91]
	s_wait_loadcnt_dscnt 0x0
	v_mul_f64_e32 v[26:27], v[4:5], v[38:39]
	scratch_store_b128 off, v[36:39], off offset:1512 ; 16-byte Folded Spill
	v_fma_f64 v[104:105], v[2:3], v[36:37], -v[26:27]
	v_mul_f64_e32 v[2:3], v[2:3], v[38:39]
	s_delay_alu instid0(VALU_DEP_1)
	v_fma_f64 v[100:101], v[4:5], v[36:37], v[2:3]
	global_load_b128 v[36:39], v[9:10], off offset:1264
	ds_load_b128 v[2:5], v140 offset:24192
	s_wait_loadcnt_dscnt 0x0
	v_mul_f64_e32 v[9:10], v[4:5], v[38:39]
	scratch_store_b128 off, v[36:39], off offset:1580 ; 16-byte Folded Spill
	v_fma_f64 v[9:10], v[2:3], v[36:37], -v[9:10]
	v_mul_f64_e32 v[2:3], v[2:3], v[38:39]
	s_delay_alu instid0(VALU_DEP_1) | instskip(SKIP_1) | instid1(VALU_DEP_1)
	v_fma_f64 v[5:6], v[4:5], v[36:37], v[2:3]
	v_mul_u32_u24_e32 v2, 0x6523, v8
	v_lshrrev_b32_e32 v27, 21, v2
	s_delay_alu instid0(VALU_DEP_1) | instskip(NEXT) | instid1(VALU_DEP_1)
	v_mul_lo_u16 v2, 0x51, v27
	v_sub_nc_u16 v120, v1, v2
	s_delay_alu instid0(VALU_DEP_1) | instskip(NEXT) | instid1(VALU_DEP_1)
	v_lshlrev_b16 v1, 5, v120
	v_and_b32_e32 v1, 0xffff, v1
	s_delay_alu instid0(VALU_DEP_1)
	v_add_co_u32 v36, s14, s10, v1
	s_wait_alu 0xf1ff
	v_add_co_ci_u32_e64 v37, null, s11, 0, s14
	ds_load_b128 v[1:4], v140 offset:16128
	global_load_b128 v[48:51], v[36:37], off offset:1248
	s_wait_loadcnt_dscnt 0x0
	v_mul_f64_e32 v[38:39], v[3:4], v[50:51]
	scratch_store_b128 off, v[48:51], off offset:1616 ; 16-byte Folded Spill
	v_fma_f64 v[106:107], v[1:2], v[48:49], -v[38:39]
	v_mul_f64_e32 v[1:2], v[1:2], v[50:51]
	s_delay_alu instid0(VALU_DEP_1)
	v_fma_f64 v[108:109], v[3:4], v[48:49], v[1:2]
	global_load_b128 v[48:51], v[36:37], off offset:1264
	ds_load_b128 v[1:4], v140 offset:25200
	s_wait_loadcnt_dscnt 0x0
	v_mul_f64_e32 v[36:37], v[3:4], v[50:51]
	scratch_store_b128 off, v[48:51], off offset:1708 ; 16-byte Folded Spill
	v_fma_f64 v[110:111], v[1:2], v[48:49], -v[36:37]
	v_mul_f64_e32 v[1:2], v[1:2], v[50:51]
	s_delay_alu instid0(VALU_DEP_1) | instskip(SKIP_2) | instid1(VALU_DEP_2)
	v_fma_f64 v[112:113], v[3:4], v[48:49], v[1:2]
	v_mul_u32_u24_e32 v1, 0x6523, v7
	v_add_f64_e32 v[48:49], v[40:41], v[42:43]
	v_lshrrev_b32_e32 v1, 21, v1
	s_delay_alu instid0(VALU_DEP_1) | instskip(NEXT) | instid1(VALU_DEP_1)
	v_mul_lo_u16 v1, 0x51, v1
	v_sub_nc_u16 v26, v0, v1
	s_delay_alu instid0(VALU_DEP_1) | instskip(NEXT) | instid1(VALU_DEP_1)
	v_lshlrev_b16 v0, 5, v26
	v_and_b32_e32 v0, 0xffff, v0
	s_delay_alu instid0(VALU_DEP_1)
	v_add_co_u32 v7, s14, s10, v0
	s_wait_alu 0xf1ff
	v_add_co_ci_u32_e64 v8, null, s11, 0, s14
	ds_load_b128 v[0:3], v140 offset:17136
	s_clause 0x1
	global_load_b128 v[164:167], v[7:8], off offset:1248
	global_load_b128 v[160:163], v[7:8], off offset:1264
	s_wait_loadcnt_dscnt 0x100
	v_mul_f64_e32 v[36:37], v[2:3], v[166:167]
	s_delay_alu instid0(VALU_DEP_1) | instskip(SKIP_2) | instid1(VALU_DEP_2)
	v_fma_f64 v[114:115], v[0:1], v[164:165], -v[36:37]
	v_mul_f64_e32 v[0:1], v[0:1], v[166:167]
	v_add_f64_e32 v[36:37], v[28:29], v[30:31]
	v_fma_f64 v[116:117], v[2:3], v[164:165], v[0:1]
	ds_load_b128 v[0:3], v140 offset:26208
	s_wait_loadcnt_dscnt 0x0
	v_mul_f64_e32 v[7:8], v[2:3], v[162:163]
	s_delay_alu instid0(VALU_DEP_1) | instskip(SKIP_2) | instid1(VALU_DEP_2)
	v_fma_f64 v[118:119], v[0:1], v[160:161], -v[7:8]
	v_mul_f64_e32 v[0:1], v[0:1], v[162:163]
	v_add_f64_e32 v[7:8], v[32:33], v[34:35]
	v_fma_f64 v[124:125], v[2:3], v[160:161], v[0:1]
	ds_load_b128 v[0:3], v140
	s_wait_dscnt 0x0
	v_fma_f64 v[7:8], v[7:8], -0.5, v[0:1]
	v_add_f64_e32 v[0:1], v[0:1], v[32:33]
	v_fma_f64 v[38:39], v[36:37], -0.5, v[2:3]
	v_add_f64_e64 v[36:37], v[28:29], -v[30:31]
	v_add_f64_e32 v[2:3], v[2:3], v[28:29]
	s_delay_alu instid0(VALU_DEP_4) | instskip(SKIP_1) | instid1(VALU_DEP_4)
	v_add_f64_e32 v[28:29], v[0:1], v[34:35]
	v_add_f64_e64 v[0:1], v[32:33], -v[34:35]
	v_fma_f64 v[32:33], v[36:37], s[2:3], v[7:8]
	v_fma_f64 v[36:37], v[36:37], s[12:13], v[7:8]
	v_add_f64_e32 v[7:8], v[44:45], v[46:47]
	v_add_f64_e32 v[30:31], v[2:3], v[30:31]
	v_fma_f64 v[34:35], v[0:1], s[12:13], v[38:39]
	v_fma_f64 v[38:39], v[0:1], s[2:3], v[38:39]
	ds_load_b128 v[0:3], v140 offset:1008
	s_wait_dscnt 0x0
	v_fma_f64 v[7:8], v[7:8], -0.5, v[0:1]
	v_add_f64_e32 v[0:1], v[0:1], v[44:45]
	v_fma_f64 v[50:51], v[48:49], -0.5, v[2:3]
	v_add_f64_e64 v[48:49], v[40:41], -v[42:43]
	v_add_f64_e32 v[2:3], v[2:3], v[40:41]
	s_delay_alu instid0(VALU_DEP_4) | instskip(SKIP_1) | instid1(VALU_DEP_4)
	v_add_f64_e32 v[40:41], v[0:1], v[46:47]
	v_add_f64_e64 v[0:1], v[44:45], -v[46:47]
	v_fma_f64 v[44:45], v[48:49], s[2:3], v[7:8]
	v_fma_f64 v[48:49], v[48:49], s[12:13], v[7:8]
	v_add_f64_e32 v[7:8], v[56:57], v[58:59]
	v_add_f64_e32 v[42:43], v[2:3], v[42:43]
	v_fma_f64 v[46:47], v[0:1], s[12:13], v[50:51]
	v_fma_f64 v[50:51], v[0:1], s[2:3], v[50:51]
	ds_load_b128 v[0:3], v140 offset:2016
	;; [unrolled: 16-line block ×4, first 2 shown]
	s_wait_dscnt 0x0
	v_fma_f64 v[7:8], v[7:8], -0.5, v[0:1]
	v_add_f64_e32 v[0:1], v[0:1], v[80:81]
	v_fma_f64 v[86:87], v[78:79], -0.5, v[2:3]
	v_add_f64_e32 v[2:3], v[2:3], v[76:77]
	s_delay_alu instid0(VALU_DEP_3)
	v_add_f64_e32 v[76:77], v[0:1], v[82:83]
	v_add_f64_e64 v[0:1], v[80:81], -v[82:83]
	v_fma_f64 v[80:81], v[84:85], s[2:3], v[7:8]
	v_fma_f64 v[84:85], v[84:85], s[12:13], v[7:8]
	v_add_f64_e32 v[7:8], v[92:93], v[13:14]
	v_add_f64_e32 v[78:79], v[2:3], v[11:12]
	;; [unrolled: 1-line block ×3, first 2 shown]
	v_fma_f64 v[82:83], v[0:1], s[12:13], v[86:87]
	v_fma_f64 v[86:87], v[0:1], s[2:3], v[86:87]
	ds_load_b128 v[0:3], v140 offset:5040
	s_wait_dscnt 0x0
	v_fma_f64 v[7:8], v[7:8], -0.5, v[0:1]
	v_add_f64_e32 v[0:1], v[0:1], v[92:93]
	v_fma_f64 v[11:12], v[11:12], -0.5, v[2:3]
	v_add_f64_e32 v[2:3], v[2:3], v[88:89]
	s_delay_alu instid0(VALU_DEP_4) | instskip(NEXT) | instid1(VALU_DEP_4)
	v_fma_f64 v[96:97], v[94:95], s[12:13], v[7:8]
	v_add_f64_e32 v[88:89], v[0:1], v[13:14]
	v_add_f64_e64 v[0:1], v[92:93], -v[13:14]
	v_fma_f64 v[92:93], v[94:95], s[2:3], v[7:8]
	v_add_f64_e32 v[7:8], v[104:105], v[9:10]
	v_add_f64_e32 v[90:91], v[2:3], v[90:91]
	v_add_f64_e64 v[13:14], v[100:101], -v[5:6]
	v_fma_f64 v[94:95], v[0:1], s[12:13], v[11:12]
	v_fma_f64 v[98:99], v[0:1], s[2:3], v[11:12]
	ds_load_b128 v[0:3], v140 offset:6048
	v_add_f64_e32 v[11:12], v[100:101], v[5:6]
	s_wait_dscnt 0x0
	v_fma_f64 v[7:8], v[7:8], -0.5, v[0:1]
	v_add_f64_e32 v[0:1], v[0:1], v[104:105]
	s_delay_alu instid0(VALU_DEP_3) | instskip(SKIP_1) | instid1(VALU_DEP_4)
	v_fma_f64 v[11:12], v[11:12], -0.5, v[2:3]
	v_add_f64_e32 v[2:3], v[2:3], v[100:101]
	v_fma_f64 v[168:169], v[13:14], s[2:3], v[7:8]
	s_delay_alu instid0(VALU_DEP_4)
	v_add_f64_e32 v[100:101], v[0:1], v[9:10]
	v_add_f64_e64 v[0:1], v[104:105], -v[9:10]
	v_fma_f64 v[172:173], v[13:14], s[12:13], v[7:8]
	v_add_f64_e64 v[8:9], v[108:109], -v[112:113]
	v_add_f64_e64 v[104:105], v[114:115], -v[118:119]
	v_add_f64_e32 v[102:103], v[2:3], v[5:6]
	v_add_f64_e32 v[6:7], v[108:109], v[112:113]
	;; [unrolled: 1-line block ×3, first 2 shown]
	v_fma_f64 v[170:171], v[0:1], s[12:13], v[11:12]
	v_fma_f64 v[174:175], v[0:1], s[2:3], v[11:12]
	ds_load_b128 v[0:3], v140 offset:7056
	v_add_f64_e64 v[12:13], v[116:117], -v[124:125]
	s_wait_dscnt 0x0
	v_fma_f64 v[6:7], v[6:7], -0.5, v[2:3]
	v_add_f64_e32 v[2:3], v[2:3], v[108:109]
	v_fma_f64 v[4:5], v[4:5], -0.5, v[0:1]
	v_add_f64_e32 v[0:1], v[0:1], v[106:107]
	s_delay_alu instid0(VALU_DEP_3) | instskip(SKIP_1) | instid1(VALU_DEP_3)
	v_add_f64_e32 v[238:239], v[2:3], v[112:113]
	v_add_f64_e64 v[2:3], v[106:107], -v[110:111]
	v_add_f64_e32 v[236:237], v[0:1], v[110:111]
	v_fma_f64 v[252:253], v[8:9], s[2:3], v[4:5]
	v_fma_f64 v[0:1], v[8:9], s[12:13], v[4:5]
	v_add_f64_e32 v[8:9], v[114:115], v[118:119]
	v_fma_f64 v[254:255], v[2:3], s[12:13], v[6:7]
	v_fma_f64 v[2:3], v[2:3], s[2:3], v[6:7]
	ds_load_b128 v[4:7], v140 offset:8064
	global_wb scope:SCOPE_SE
	s_wait_storecnt_dscnt 0x0
	s_barrier_signal -1
	s_barrier_wait -1
	global_inv scope:SCOPE_SE
	ds_store_b128 v140, v[28:31]
	ds_store_b128 v140, v[32:35] offset:1296
	ds_store_b128 v140, v[36:39] offset:2592
	s_wait_alu 0xfffd
	v_cndmask_b32_e64 v28, 0, 0xf3, vcc_lo
	v_cmp_gt_u16_e64 vcc_lo, 54, v142
	s_delay_alu instid0(VALU_DEP_2)
	v_add_lshl_u32 v16, v16, v28, 4
	ds_store_b128 v16, v[40:43]
	ds_store_b128 v16, v[44:47] offset:1296
	scratch_store_b32 off, v16, off offset:1448 ; 4-byte Folded Spill
	ds_store_b128 v16, v[48:51] offset:2592
	v_and_b32_e32 v16, 0xffff, v17
	v_fma_f64 v[10:11], v[8:9], -0.5, v[4:5]
	v_add_f64_e32 v[8:9], v[116:117], v[124:125]
	v_add_f64_e32 v[4:5], v[4:5], v[114:115]
	s_delay_alu instid0(VALU_DEP_4) | instskip(NEXT) | instid1(VALU_DEP_1)
	v_mul_u32_u24_e32 v16, 0xf3, v16
	v_add_lshl_u32 v16, v16, v18, 4
	ds_store_b128 v16, v[52:55]
	ds_store_b128 v16, v[56:59] offset:1296
	scratch_store_b32 off, v16, off offset:1468 ; 4-byte Folded Spill
	ds_store_b128 v16, v[60:63] offset:2592
	v_and_b32_e32 v16, 0xffff, v19
	v_and_b32_e32 v18, 0xffff, v26
	s_delay_alu instid0(VALU_DEP_2) | instskip(NEXT) | instid1(VALU_DEP_1)
	v_mul_u32_u24_e32 v16, 0xf3, v16
	v_add_lshl_u32 v16, v16, v20, 4
	ds_store_b128 v16, v[64:67]
	ds_store_b128 v16, v[68:71] offset:1296
	scratch_store_b32 off, v16, off offset:1508 ; 4-byte Folded Spill
	ds_store_b128 v16, v[72:75] offset:2592
	v_and_b32_e32 v16, 0xffff, v21
	v_fma_f64 v[14:15], v[8:9], -0.5, v[6:7]
	v_add_f64_e32 v[6:7], v[6:7], v[116:117]
	s_delay_alu instid0(VALU_DEP_3)
	v_lshlrev_b32_e32 v16, 4, v16
	ds_store_b128 v16, v[76:79] offset:11664
	ds_store_b128 v16, v[80:83] offset:12960
	scratch_store_b32 off, v16, off offset:1528 ; 4-byte Folded Spill
	ds_store_b128 v16, v[84:87] offset:14256
	v_mad_u16 v16, 0xf3, v22, v23
	v_fma_f64 v[8:9], v[12:13], s[2:3], v[10:11]
	v_fma_f64 v[12:13], v[12:13], s[12:13], v[10:11]
	v_add_f64_e32 v[4:5], v[4:5], v[118:119]
	s_delay_alu instid0(VALU_DEP_4) | instskip(NEXT) | instid1(VALU_DEP_1)
	v_and_b32_e32 v16, 0xffff, v16
	v_lshlrev_b32_e32 v16, 4, v16
	ds_store_b128 v16, v[88:91]
	ds_store_b128 v16, v[92:95] offset:1296
	scratch_store_b32 off, v16, off offset:1532 ; 4-byte Folded Spill
	ds_store_b128 v16, v[96:99] offset:2592
	v_mad_u16 v16, 0xf3, v24, v25
                                        ; implicit-def: $vgpr24_vgpr25
	s_delay_alu instid0(VALU_DEP_1) | instskip(SKIP_3) | instid1(VALU_DEP_4)
	v_and_b32_e32 v16, 0xffff, v16
	v_fma_f64 v[10:11], v[104:105], s[12:13], v[14:15]
	v_fma_f64 v[14:15], v[104:105], s[2:3], v[14:15]
	v_add_f64_e32 v[6:7], v[6:7], v[124:125]
	v_lshlrev_b32_e32 v16, 4, v16
	ds_store_b128 v16, v[100:103]
	ds_store_b128 v16, v[168:171] offset:1296
	scratch_store_b32 off, v16, off offset:1552 ; 4-byte Folded Spill
	ds_store_b128 v16, v[172:175] offset:2592
	v_mad_u16 v16, 0xf3, v27, v120
	s_load_b64 s[2:3], s[0:1], 0x38
	v_add_co_u32 v28, s0, s8, v140
	s_wait_alu 0xf1ff
	v_add_co_ci_u32_e64 v29, null, s9, 0, s0
	v_and_b32_e32 v19, 0xffff, v16
	v_lshlrev_b32_e32 v16, 4, v18
	s_delay_alu instid0(VALU_DEP_2)
	v_lshlrev_b32_e32 v17, 4, v19
	ds_store_b128 v17, v[236:239]
	ds_store_b128 v17, v[252:255] offset:1296
	scratch_store_b32 off, v17, off offset:1748 ; 4-byte Folded Spill
	ds_store_b128 v17, v[0:3] offset:2592
	ds_store_b128 v16, v[4:7] offset:23328
	;; [unrolled: 1-line block ×3, first 2 shown]
	scratch_store_b32 off, v16, off offset:1744 ; 4-byte Folded Spill
	ds_store_b128 v16, v[12:15] offset:25920
	global_wb scope:SCOPE_SE
	s_wait_storecnt_dscnt 0x0
	s_wait_kmcnt 0x0
	s_barrier_signal -1
	s_barrier_wait -1
	global_inv scope:SCOPE_SE
	ds_load_b128 v[248:251], v140
	ds_load_b128 v[244:247], v140 offset:1008
	ds_load_b128 v[180:183], v140 offset:7776
	;; [unrolled: 1-line block ×20, first 2 shown]
	s_and_saveexec_b32 s0, vcc_lo
	s_cbranch_execz .LBB0_3
; %bb.2:
	ds_load_b128 v[236:239], v140 offset:3024
	ds_load_b128 v[252:255], v140 offset:6912
	;; [unrolled: 1-line block ×7, first 2 shown]
.LBB0_3:
	s_wait_alu 0xfffe
	s_or_b32 exec_lo, exec_lo, s0
	v_mad_co_u64_u32 v[30:31], null, 0x60, v141, s[10:11]
	s_mov_b32 s22, 0x37e14327
	s_mov_b32 s23, 0x3fe948f6
	;; [unrolled: 1-line block ×6, first 2 shown]
	s_clause 0x1
	global_load_b128 v[34:37], v[30:31], off offset:3840
	global_load_b128 v[232:235], v[30:31], off offset:3888
	s_mov_b32 s19, 0xbff2aaaa
	s_mov_b32 s21, 0xbfe77f67
	;; [unrolled: 1-line block ×9, first 2 shown]
	s_wait_loadcnt_dscnt 0x10c
	v_mul_f64_e32 v[32:33], v[178:179], v[36:37]
	scratch_store_b128 off, v[34:37], off offset:1452 ; 16-byte Folded Spill
	v_fma_f64 v[82:83], v[176:177], v[34:35], -v[32:33]
	v_mul_f64_e32 v[32:33], v[176:177], v[36:37]
	s_delay_alu instid0(VALU_DEP_1) | instskip(SKIP_3) | instid1(VALU_DEP_1)
	v_fma_f64 v[80:81], v[178:179], v[34:35], v[32:33]
	global_load_b128 v[176:179], v[30:31], off offset:3856
	s_wait_loadcnt 0x0
	v_mul_f64_e32 v[32:33], v[182:183], v[178:179]
	v_fma_f64 v[86:87], v[180:181], v[176:177], -v[32:33]
	v_mul_f64_e32 v[32:33], v[180:181], v[178:179]
	s_delay_alu instid0(VALU_DEP_1) | instskip(SKIP_3) | instid1(VALU_DEP_1)
	v_fma_f64 v[84:85], v[182:183], v[176:177], v[32:33]
	global_load_b128 v[180:183], v[30:31], off offset:3904
	s_wait_loadcnt_dscnt 0x4
	v_mul_f64_e32 v[32:33], v[186:187], v[182:183]
	v_fma_f64 v[90:91], v[184:185], v[180:181], -v[32:33]
	v_mul_f64_e32 v[32:33], v[184:185], v[182:183]
	s_delay_alu instid0(VALU_DEP_1) | instskip(SKIP_3) | instid1(VALU_DEP_1)
	v_fma_f64 v[88:89], v[186:187], v[180:181], v[32:33]
	global_load_b128 v[184:187], v[30:31], off offset:3920
	s_wait_loadcnt 0x0
	v_mul_f64_e32 v[32:33], v[190:191], v[186:187]
	v_fma_f64 v[94:95], v[188:189], v[184:185], -v[32:33]
	v_mul_f64_e32 v[32:33], v[188:189], v[186:187]
	s_delay_alu instid0(VALU_DEP_1) | instskip(SKIP_3) | instid1(VALU_DEP_1)
	v_fma_f64 v[92:93], v[190:191], v[184:185], v[32:33]
	global_load_b128 v[188:191], v[30:31], off offset:9888
	s_wait_loadcnt 0x0
	;; [unrolled: 7-line block ×3, first 2 shown]
	v_mul_f64_e32 v[32:33], v[194:195], v[198:199]
	v_fma_f64 v[54:55], v[192:193], v[196:197], -v[32:33]
	v_mul_f64_e32 v[32:33], v[192:193], v[198:199]
	s_delay_alu instid0(VALU_DEP_1) | instskip(SKIP_3) | instid1(VALU_DEP_1)
	v_fma_f64 v[52:53], v[194:195], v[196:197], v[32:33]
	global_load_b128 v[192:195], v[30:31], off offset:9952
	s_wait_loadcnt_dscnt 0x2
	v_mul_f64_e32 v[32:33], v[202:203], v[194:195]
	v_fma_f64 v[58:59], v[200:201], v[192:193], -v[32:33]
	v_mul_f64_e32 v[32:33], v[200:201], v[194:195]
	s_delay_alu instid0(VALU_DEP_2) | instskip(NEXT) | instid1(VALU_DEP_2)
	v_add_f64_e32 v[114:115], v[54:55], v[58:59]
	v_fma_f64 v[56:57], v[202:203], v[192:193], v[32:33]
	global_load_b128 v[200:203], v[30:31], off offset:9968
	v_add_f64_e32 v[126:127], v[52:53], v[56:57]
	s_wait_loadcnt 0x0
	v_mul_f64_e32 v[32:33], v[206:207], v[202:203]
	s_delay_alu instid0(VALU_DEP_1) | instskip(SKIP_1) | instid1(VALU_DEP_2)
	v_fma_f64 v[62:63], v[204:205], v[200:201], -v[32:33]
	v_mul_f64_e32 v[32:33], v[204:205], v[202:203]
	v_add_f64_e32 v[112:113], v[50:51], v[62:63]
	s_delay_alu instid0(VALU_DEP_2) | instskip(SKIP_3) | instid1(VALU_DEP_1)
	v_fma_f64 v[60:61], v[206:207], v[200:201], v[32:33]
	global_load_b128 v[204:207], v[30:31], off offset:15936
	v_add_f64_e32 v[118:119], v[114:115], v[112:113]
	v_add_f64_e32 v[124:125], v[48:49], v[60:61]
	;; [unrolled: 1-line block ×3, first 2 shown]
	s_wait_loadcnt 0x0
	v_mul_f64_e32 v[32:33], v[214:215], v[206:207]
	s_delay_alu instid0(VALU_DEP_1) | instskip(SKIP_1) | instid1(VALU_DEP_1)
	v_fma_f64 v[34:35], v[212:213], v[204:205], -v[32:33]
	v_mul_f64_e32 v[32:33], v[212:213], v[206:207]
	v_fma_f64 v[32:33], v[214:215], v[204:205], v[32:33]
	global_load_b128 v[212:215], v[30:31], off offset:15952
	s_wait_loadcnt 0x0
	v_mul_f64_e32 v[36:37], v[210:211], v[214:215]
	s_delay_alu instid0(VALU_DEP_1) | instskip(SKIP_1) | instid1(VALU_DEP_1)
	v_fma_f64 v[38:39], v[208:209], v[212:213], -v[36:37]
	v_mul_f64_e32 v[36:37], v[208:209], v[214:215]
	v_fma_f64 v[36:37], v[210:211], v[212:213], v[36:37]
	global_load_b128 v[208:211], v[30:31], off offset:16000
	s_wait_loadcnt_dscnt 0x1
	v_mul_f64_e32 v[40:41], v[222:223], v[210:211]
	s_delay_alu instid0(VALU_DEP_1) | instskip(SKIP_1) | instid1(VALU_DEP_2)
	v_fma_f64 v[42:43], v[220:221], v[208:209], -v[40:41]
	v_mul_f64_e32 v[40:41], v[220:221], v[210:211]
	v_add_f64_e32 v[134:135], v[38:39], v[42:43]
	s_delay_alu instid0(VALU_DEP_2) | instskip(SKIP_4) | instid1(VALU_DEP_1)
	v_fma_f64 v[40:41], v[222:223], v[208:209], v[40:41]
	global_load_b128 v[220:223], v[30:31], off offset:16016
	v_add_f64_e32 v[122:123], v[36:37], v[40:41]
	s_wait_loadcnt_dscnt 0x0
	v_mul_f64_e32 v[44:45], v[218:219], v[222:223]
	v_fma_f64 v[46:47], v[216:217], v[220:221], -v[44:45]
	v_mul_f64_e32 v[44:45], v[216:217], v[222:223]
	s_delay_alu instid0(VALU_DEP_2) | instskip(NEXT) | instid1(VALU_DEP_2)
	v_add_f64_e32 v[132:133], v[34:35], v[46:47]
	v_fma_f64 v[44:45], v[218:219], v[220:221], v[44:45]
	global_load_b128 v[216:219], v[30:31], off offset:3872
	v_add_f64_e32 v[120:121], v[32:33], v[44:45]
	v_add_f64_e64 v[32:33], v[32:33], -v[44:45]
	v_add_f64_e64 v[44:45], v[134:135], -v[132:133]
	s_delay_alu instid0(VALU_DEP_3) | instskip(SKIP_2) | instid1(VALU_DEP_1)
	v_add_f64_e32 v[138:139], v[122:123], v[120:121]
	s_wait_loadcnt 0x0
	v_mul_f64_e32 v[64:65], v[230:231], v[218:219]
	v_fma_f64 v[98:99], v[228:229], v[216:217], -v[64:65]
	v_mul_f64_e32 v[64:65], v[228:229], v[218:219]
	s_delay_alu instid0(VALU_DEP_1) | instskip(SKIP_2) | instid1(VALU_DEP_1)
	v_fma_f64 v[96:97], v[230:231], v[216:217], v[64:65]
	global_load_b128 v[228:231], v[30:31], off offset:9920
	v_mul_f64_e32 v[64:65], v[174:175], v[234:235]
	v_fma_f64 v[102:103], v[172:173], v[232:233], -v[64:65]
	v_mul_f64_e32 v[64:65], v[172:173], v[234:235]
	s_delay_alu instid0(VALU_DEP_1) | instskip(SKIP_3) | instid1(VALU_DEP_1)
	v_fma_f64 v[100:101], v[174:175], v[232:233], v[64:65]
	global_load_b128 v[172:175], v[30:31], off offset:15968
	s_wait_loadcnt 0x1
	v_mul_f64_e32 v[64:65], v[226:227], v[230:231]
	v_fma_f64 v[74:75], v[224:225], v[228:229], -v[64:65]
	v_mul_f64_e32 v[64:65], v[224:225], v[230:231]
	s_delay_alu instid0(VALU_DEP_1) | instskip(SKIP_3) | instid1(VALU_DEP_1)
	v_fma_f64 v[72:73], v[226:227], v[228:229], v[64:65]
	global_load_b128 v[224:227], v[30:31], off offset:9936
	s_wait_loadcnt 0x0
	v_mul_f64_e32 v[64:65], v[170:171], v[226:227]
	v_fma_f64 v[78:79], v[168:169], v[224:225], -v[64:65]
	v_mul_f64_e32 v[64:65], v[168:169], v[226:227]
	s_delay_alu instid0(VALU_DEP_2) | instskip(NEXT) | instid1(VALU_DEP_2)
	v_add_f64_e32 v[116:117], v[74:75], v[78:79]
	v_fma_f64 v[76:77], v[170:171], v[224:225], v[64:65]
	global_load_b128 v[168:171], v[30:31], off offset:15984
	v_mul_f64_e32 v[64:65], v[22:23], v[174:175]
	v_add_f64_e32 v[118:119], v[116:117], v[118:119]
	v_add_f64_e32 v[128:129], v[72:73], v[76:77]
	s_delay_alu instid0(VALU_DEP_3) | instskip(SKIP_1) | instid1(VALU_DEP_4)
	v_fma_f64 v[66:67], v[20:21], v[172:173], -v[64:65]
	v_mul_f64_e32 v[20:21], v[20:21], v[174:175]
	v_add_f64_e32 v[244:245], v[244:245], v[118:119]
	s_delay_alu instid0(VALU_DEP_4) | instskip(NEXT) | instid1(VALU_DEP_3)
	v_add_f64_e32 v[130:131], v[128:129], v[130:131]
	v_fma_f64 v[64:65], v[22:23], v[172:173], v[20:21]
	s_delay_alu instid0(VALU_DEP_2) | instskip(SKIP_2) | instid1(VALU_DEP_1)
	v_add_f64_e32 v[246:247], v[246:247], v[130:131]
	s_wait_loadcnt 0x0
	v_mul_f64_e32 v[20:21], v[18:19], v[170:171]
	v_fma_f64 v[70:71], v[16:17], v[168:169], -v[20:21]
	v_mul_f64_e32 v[16:17], v[16:17], v[170:171]
	s_delay_alu instid0(VALU_DEP_1) | instskip(SKIP_1) | instid1(VALU_DEP_1)
	v_fma_f64 v[68:69], v[18:19], v[168:169], v[16:17]
	v_subrev_nc_u32_e32 v16, 54, v141
	v_cndmask_b32_e32 v16, v16, v143, vcc_lo
	v_add_f64_e32 v[142:143], v[134:135], v[132:133]
	s_delay_alu instid0(VALU_DEP_2) | instskip(SKIP_1) | instid1(VALU_DEP_2)
	v_mul_i32_i24_e32 v17, 0x60, v16
	v_mul_hi_i32_i24_e32 v16, 0x60, v16
	v_add_co_u32 v104, s0, s10, v17
	s_wait_alu 0xf1ff
	s_delay_alu instid0(VALU_DEP_2)
	v_add_co_ci_u32_e64 v105, s0, s11, v16, s0
	s_mov_b32 s0, 0x429ad128
	s_mov_b32 s1, 0x3febfeb5
	;; [unrolled: 1-line block ×3, first 2 shown]
	s_clause 0x1
	global_load_b128 v[20:23], v[104:105], off offset:3840
	global_load_b128 v[106:109], v[104:105], off offset:3856
	s_mov_b32 s11, 0x3fe77f67
	s_wait_alu 0xfffe
	s_mov_b32 s20, s10
	v_add_f64_e32 v[136:137], v[64:65], v[68:69]
	s_delay_alu instid0(VALU_DEP_1) | instskip(NEXT) | instid1(VALU_DEP_1)
	v_add_f64_e32 v[138:139], v[136:137], v[138:139]
	v_add_f64_e32 v[242:243], v[242:243], v[138:139]
	s_wait_loadcnt 0x1
	v_mul_f64_e32 v[16:17], v[254:255], v[22:23]
	v_mul_f64_e32 v[18:19], v[252:253], v[22:23]
	scratch_store_b128 off, v[20:23], off offset:1752 ; 16-byte Folded Spill
	s_wait_loadcnt 0x0
	scratch_store_b128 off, v[106:109], off offset:1768 ; 16-byte Folded Spill
	v_fma_f64 v[16:17], v[252:253], v[20:21], -v[16:17]
	v_fma_f64 v[18:19], v[254:255], v[20:21], v[18:19]
	v_mul_f64_e32 v[20:21], v[2:3], v[108:109]
	v_add_f64_e32 v[254:255], v[66:67], v[70:71]
	s_delay_alu instid0(VALU_DEP_2) | instskip(SKIP_1) | instid1(VALU_DEP_3)
	v_fma_f64 v[20:21], v[0:1], v[106:107], -v[20:21]
	v_mul_f64_e32 v[0:1], v[0:1], v[108:109]
	v_add_f64_e32 v[142:143], v[254:255], v[142:143]
	s_delay_alu instid0(VALU_DEP_2)
	v_fma_f64 v[22:23], v[2:3], v[106:107], v[0:1]
	global_load_b128 v[106:109], v[104:105], off offset:3920
	v_add_f64_e32 v[2:3], v[86:87], v[90:91]
	v_add_f64_e64 v[86:87], v[86:87], -v[90:91]
	v_add_f64_e64 v[90:91], v[102:103], -v[98:99]
	v_add_f64_e32 v[240:241], v[240:241], v[142:143]
	s_wait_loadcnt 0x0
	v_mul_f64_e32 v[0:1], v[26:27], v[108:109]
	scratch_store_b128 off, v[106:109], off offset:1784 ; 16-byte Folded Spill
	v_fma_f64 v[30:31], v[24:25], v[106:107], -v[0:1]
	v_mul_f64_e32 v[0:1], v[24:25], v[108:109]
	s_delay_alu instid0(VALU_DEP_1)
	v_fma_f64 v[24:25], v[26:27], v[106:107], v[0:1]
	global_load_b128 v[106:109], v[104:105], off offset:3904
	s_wait_loadcnt 0x0
	v_mul_f64_e32 v[0:1], v[14:15], v[108:109]
	scratch_store_b128 off, v[106:109], off offset:1800 ; 16-byte Folded Spill
	v_fma_f64 v[26:27], v[12:13], v[106:107], -v[0:1]
	v_mul_f64_e32 v[0:1], v[12:13], v[108:109]
	s_delay_alu instid0(VALU_DEP_1)
	v_fma_f64 v[12:13], v[14:15], v[106:107], v[0:1]
	global_load_b128 v[106:109], v[104:105], off offset:3872
	s_wait_loadcnt 0x0
	v_mul_f64_e32 v[0:1], v[6:7], v[108:109]
	scratch_store_b128 off, v[106:109], off offset:1816 ; 16-byte Folded Spill
	v_fma_f64 v[14:15], v[4:5], v[106:107], -v[0:1]
	v_mul_f64_e32 v[0:1], v[4:5], v[108:109]
	v_add_f64_e32 v[108:109], v[96:97], v[100:101]
	s_delay_alu instid0(VALU_DEP_2)
	v_fma_f64 v[4:5], v[6:7], v[106:107], v[0:1]
	global_load_b128 v[104:107], v[104:105], off offset:3888
	s_wait_loadcnt 0x0
	v_mul_f64_e32 v[0:1], v[10:11], v[106:107]
	scratch_store_b128 off, v[104:107], off offset:1832 ; 16-byte Folded Spill
	v_fma_f64 v[252:253], v[8:9], v[104:105], -v[0:1]
	v_mul_f64_e32 v[0:1], v[8:9], v[106:107]
	v_add_f64_e32 v[106:107], v[84:85], v[88:89]
	v_add_f64_e32 v[8:9], v[98:99], v[102:103]
	s_delay_alu instid0(VALU_DEP_3)
	v_fma_f64 v[6:7], v[10:11], v[104:105], v[0:1]
	v_add_f64_e32 v[0:1], v[82:83], v[94:95]
	v_add_f64_e32 v[104:105], v[80:81], v[92:93]
	v_add_f64_e64 v[94:95], v[82:83], -v[94:95]
	v_add_f64_e64 v[82:83], v[84:85], -v[88:89]
	;; [unrolled: 1-line block ×5, first 2 shown]
	v_add_f64_e32 v[80:81], v[90:91], v[86:87]
	v_add_f64_e64 v[84:85], v[90:91], -v[86:87]
	v_add_f64_e32 v[10:11], v[2:3], v[0:1]
	v_add_f64_e32 v[110:111], v[106:107], v[104:105]
	v_add_f64_e64 v[96:97], v[2:3], -v[0:1]
	v_add_f64_e64 v[2:3], v[8:9], -v[2:3]
	;; [unrolled: 1-line block ×6, first 2 shown]
	v_add_f64_e32 v[86:87], v[88:89], v[82:83]
	v_add_f64_e64 v[106:107], v[88:89], -v[82:83]
	v_add_f64_e32 v[146:147], v[80:81], v[94:95]
	v_mul_f64_e32 v[82:83], s[12:13], v[100:101]
	v_mul_f64_e32 v[150:151], s[14:15], v[84:85]
	v_add_f64_e32 v[10:11], v[8:9], v[10:11]
	v_add_f64_e32 v[110:111], v[108:109], v[110:111]
	v_add_f64_e64 v[8:9], v[104:105], -v[108:109]
	v_add_f64_e64 v[104:105], v[94:95], -v[90:91]
	;; [unrolled: 1-line block ×3, first 2 shown]
	v_mul_f64_e32 v[88:89], s[0:1], v[102:103]
	v_mul_f64_e32 v[90:91], s[0:1], v[144:145]
	v_mul_f64_e32 v[0:1], s[22:23], v[0:1]
	v_add_f64_e32 v[148:149], v[86:87], v[92:93]
	v_mul_f64_e32 v[80:81], s[12:13], v[2:3]
	v_mul_f64_e32 v[106:107], s[14:15], v[106:107]
	v_fma_f64 v[82:83], v[98:99], s[10:11], -v[82:83]
	v_fma_f64 v[84:85], v[102:103], s[0:1], -v[150:151]
	v_add_f64_e32 v[248:249], v[248:249], v[10:11]
	v_add_f64_e32 v[250:251], v[250:251], v[110:111]
	v_mul_f64_e32 v[8:9], s[22:23], v[8:9]
	v_fma_f64 v[88:89], v[104:105], s[26:27], -v[88:89]
	v_fma_f64 v[90:91], v[108:109], s[26:27], -v[90:91]
	;; [unrolled: 1-line block ×3, first 2 shown]
	v_fma_f64 v[0:1], v[2:3], s[12:13], v[0:1]
	v_fma_f64 v[80:81], v[96:97], s[10:11], -v[80:81]
	v_fma_f64 v[86:87], v[146:147], s[16:17], v[84:85]
	v_fma_f64 v[84:85], v[144:145], s[0:1], -v[106:107]
	v_fma_f64 v[10:11], v[10:11], s[18:19], v[248:249]
	v_fma_f64 v[110:111], v[110:111], s[18:19], v[250:251]
	v_fma_f64 v[94:95], v[98:99], s[20:21], -v[8:9]
	v_fma_f64 v[2:3], v[100:101], s[12:13], v[8:9]
	v_fma_f64 v[96:97], v[146:147], s[16:17], v[88:89]
	;; [unrolled: 1-line block ×4, first 2 shown]
	v_add_f64_e32 v[92:93], v[92:93], v[10:11]
	v_add_f64_e32 v[0:1], v[0:1], v[10:11]
	;; [unrolled: 1-line block ×5, first 2 shown]
	v_add_f64_e64 v[10:11], v[52:53], -v[56:57]
	v_add_f64_e64 v[56:57], v[76:77], -v[72:73]
	;; [unrolled: 1-line block ×3, first 2 shown]
	v_add_f64_e32 v[154:155], v[82:83], v[110:111]
	v_fma_f64 v[110:111], v[130:131], s[18:19], v[246:247]
	v_add_f64_e32 v[88:89], v[98:99], v[92:93]
	v_add_f64_e64 v[92:93], v[92:93], -v[98:99]
	v_add_f64_e64 v[90:91], v[94:95], -v[96:97]
	v_add_f64_e32 v[94:95], v[96:97], v[94:95]
	v_fma_f64 v[96:97], v[104:105], s[24:25], v[150:151]
	v_fma_f64 v[98:99], v[108:109], s[24:25], v[106:107]
	v_add_f64_e32 v[52:53], v[56:57], v[10:11]
	v_fma_f64 v[108:109], v[118:119], s[18:19], v[244:245]
	v_add_f64_e64 v[80:81], v[152:153], -v[84:85]
	v_add_f64_e32 v[82:83], v[86:87], v[154:155]
	v_add_f64_e32 v[84:85], v[84:85], v[152:153]
	v_add_f64_e64 v[86:87], v[154:155], -v[86:87]
	v_fma_f64 v[8:9], v[146:147], s[16:17], v[96:97]
	v_fma_f64 v[100:101], v[148:149], s[16:17], v[98:99]
	s_delay_alu instid0(VALU_DEP_2) | instskip(NEXT) | instid1(VALU_DEP_2)
	v_add_f64_e64 v[98:99], v[2:3], -v[8:9]
	v_add_f64_e32 v[96:97], v[100:101], v[0:1]
	v_add_f64_e64 v[100:101], v[0:1], -v[100:101]
	v_add_f64_e32 v[102:103], v[8:9], v[2:3]
	v_add_f64_e64 v[0:1], v[54:55], -v[58:59]
	v_add_f64_e64 v[2:3], v[78:79], -v[74:75]
	;; [unrolled: 1-line block ×10, first 2 shown]
	v_add_f64_e32 v[48:49], v[2:3], v[0:1]
	v_add_f64_e64 v[0:1], v[0:1], -v[8:9]
	v_add_f64_e64 v[10:11], v[10:11], -v[58:59]
	v_add_f64_e32 v[78:79], v[52:53], v[58:59]
	v_mul_f64_e32 v[106:107], s[14:15], v[54:55]
	v_add_f64_e64 v[2:3], v[8:9], -v[2:3]
	v_mul_f64_e32 v[112:113], s[22:23], v[112:113]
	v_mul_f64_e32 v[104:105], s[14:15], v[50:51]
	v_add_f64_e32 v[76:77], v[48:49], v[8:9]
	v_mul_f64_e32 v[48:49], s[12:13], v[72:73]
	v_add_f64_e64 v[8:9], v[58:59], -v[56:57]
	v_mul_f64_e32 v[50:51], s[12:13], v[74:75]
	v_fma_f64 v[56:57], v[60:61], s[20:21], -v[112:113]
	v_fma_f64 v[52:53], v[0:1], s[0:1], -v[104:105]
	v_mul_f64_e32 v[0:1], s[0:1], v[0:1]
	v_fma_f64 v[48:49], v[60:61], s[10:11], -v[48:49]
	v_fma_f64 v[50:51], v[62:63], s[10:11], -v[50:51]
	v_add_f64_e32 v[60:61], v[56:57], v[108:109]
	v_fma_f64 v[54:55], v[76:77], s[16:17], v[52:53]
	v_fma_f64 v[52:53], v[10:11], s[0:1], -v[106:107]
	v_add_f64_e32 v[114:115], v[48:49], v[108:109]
	v_mul_f64_e32 v[10:11], s[0:1], v[10:11]
	v_fma_f64 v[0:1], v[2:3], s[26:27], -v[0:1]
	v_add_f64_e32 v[118:119], v[50:51], v[110:111]
	v_fma_f64 v[52:53], v[78:79], s[16:17], v[52:53]
	s_delay_alu instid0(VALU_DEP_4) | instskip(NEXT) | instid1(VALU_DEP_4)
	v_fma_f64 v[10:11], v[8:9], s[26:27], -v[10:11]
	v_fma_f64 v[0:1], v[76:77], s[16:17], v[0:1]
	s_delay_alu instid0(VALU_DEP_4)
	v_add_f64_e32 v[50:51], v[54:55], v[118:119]
	v_add_f64_e64 v[54:55], v[118:119], -v[54:55]
	v_add_f64_e64 v[48:49], v[114:115], -v[52:53]
	v_add_f64_e32 v[52:53], v[52:53], v[114:115]
	v_add_f64_e64 v[114:115], v[124:125], -v[128:129]
	v_fma_f64 v[10:11], v[78:79], s[16:17], v[10:11]
	s_delay_alu instid0(VALU_DEP_2) | instskip(NEXT) | instid1(VALU_DEP_2)
	v_mul_f64_e32 v[114:115], s[22:23], v[114:115]
	v_add_f64_e32 v[56:57], v[10:11], v[60:61]
	v_add_f64_e64 v[60:61], v[60:61], -v[10:11]
	s_delay_alu instid0(VALU_DEP_3) | instskip(SKIP_2) | instid1(VALU_DEP_3)
	v_fma_f64 v[58:59], v[62:63], s[20:21], -v[114:115]
	v_fma_f64 v[10:11], v[74:75], s[12:13], v[114:115]
	v_fma_f64 v[114:115], v[138:139], s[18:19], v[242:243]
	v_add_f64_e32 v[62:63], v[58:59], v[110:111]
	s_delay_alu instid0(VALU_DEP_3) | instskip(NEXT) | instid1(VALU_DEP_2)
	v_add_f64_e32 v[10:11], v[10:11], v[110:111]
	v_add_f64_e64 v[58:59], v[62:63], -v[0:1]
	v_add_f64_e32 v[62:63], v[0:1], v[62:63]
	v_fma_f64 v[0:1], v[2:3], s[24:25], v[104:105]
	v_fma_f64 v[2:3], v[8:9], s[24:25], v[106:107]
	;; [unrolled: 1-line block ×4, first 2 shown]
	s_delay_alu instid0(VALU_DEP_4) | instskip(NEXT) | instid1(VALU_DEP_4)
	v_fma_f64 v[0:1], v[76:77], s[16:17], v[0:1]
	v_fma_f64 v[2:3], v[78:79], s[16:17], v[2:3]
	s_delay_alu instid0(VALU_DEP_4) | instskip(NEXT) | instid1(VALU_DEP_3)
	v_add_f64_e32 v[8:9], v[8:9], v[108:109]
	v_add_f64_e64 v[74:75], v[10:11], -v[0:1]
	v_add_f64_e32 v[78:79], v[0:1], v[10:11]
	s_delay_alu instid0(VALU_DEP_3)
	v_add_f64_e32 v[72:73], v[2:3], v[8:9]
	v_add_f64_e64 v[76:77], v[8:9], -v[2:3]
	v_add_f64_e64 v[0:1], v[38:39], -v[42:43]
	;; [unrolled: 1-line block ×10, first 2 shown]
	v_add_f64_e32 v[36:37], v[2:3], v[0:1]
	v_add_f64_e64 v[0:1], v[0:1], -v[8:9]
	v_add_f64_e32 v[40:41], v[34:35], v[10:11]
	v_add_f64_e64 v[42:43], v[34:35], -v[10:11]
	v_add_f64_e64 v[10:11], v[10:11], -v[32:33]
	;; [unrolled: 1-line block ×3, first 2 shown]
	v_mul_f64_e32 v[108:109], s[14:15], v[38:39]
	v_add_f64_e32 v[104:105], v[36:37], v[8:9]
	v_mul_f64_e32 v[36:37], s[12:13], v[68:69]
	v_add_f64_e32 v[106:107], v[40:41], v[32:33]
	v_mul_f64_e32 v[110:111], s[14:15], v[42:43]
	v_mul_f64_e32 v[38:39], s[12:13], v[70:71]
	v_add_f64_e64 v[8:9], v[32:33], -v[34:35]
	v_fma_f64 v[40:41], v[0:1], s[0:1], -v[108:109]
	v_mul_f64_e32 v[0:1], s[0:1], v[0:1]
	v_fma_f64 v[36:37], v[44:45], s[10:11], -v[36:37]
	v_fma_f64 v[38:39], v[46:47], s[10:11], -v[38:39]
	s_delay_alu instid0(VALU_DEP_4) | instskip(SKIP_1) | instid1(VALU_DEP_4)
	v_fma_f64 v[42:43], v[104:105], s[16:17], v[40:41]
	v_fma_f64 v[40:41], v[10:11], s[0:1], -v[110:111]
	v_add_f64_e32 v[64:65], v[36:37], v[112:113]
	v_mul_f64_e32 v[10:11], s[0:1], v[10:11]
	v_fma_f64 v[0:1], v[2:3], s[26:27], -v[0:1]
	v_add_f64_e32 v[66:67], v[38:39], v[114:115]
	v_fma_f64 v[40:41], v[106:107], s[16:17], v[40:41]
	s_delay_alu instid0(VALU_DEP_4) | instskip(NEXT) | instid1(VALU_DEP_4)
	v_fma_f64 v[10:11], v[8:9], s[26:27], -v[10:11]
	v_fma_f64 v[0:1], v[104:105], s[16:17], v[0:1]
	s_delay_alu instid0(VALU_DEP_4)
	v_add_f64_e32 v[38:39], v[42:43], v[66:67]
	v_add_f64_e64 v[42:43], v[66:67], -v[42:43]
	v_add_f64_e64 v[66:67], v[120:121], -v[136:137]
	;; [unrolled: 1-line block ×3, first 2 shown]
	v_add_f64_e32 v[40:41], v[40:41], v[64:65]
	v_add_f64_e64 v[64:65], v[132:133], -v[254:255]
	v_fma_f64 v[10:11], v[106:107], s[16:17], v[10:11]
	v_mul_f64_e32 v[34:35], s[22:23], v[66:67]
	s_delay_alu instid0(VALU_DEP_3) | instskip(NEXT) | instid1(VALU_DEP_2)
	v_mul_f64_e32 v[32:33], s[22:23], v[64:65]
	v_fma_f64 v[46:47], v[46:47], s[20:21], -v[34:35]
	s_delay_alu instid0(VALU_DEP_2) | instskip(NEXT) | instid1(VALU_DEP_2)
	v_fma_f64 v[44:45], v[44:45], s[20:21], -v[32:33]
	v_add_f64_e32 v[66:67], v[46:47], v[114:115]
	s_delay_alu instid0(VALU_DEP_2) | instskip(NEXT) | instid1(VALU_DEP_2)
	v_add_f64_e32 v[64:65], v[44:45], v[112:113]
	v_add_f64_e64 v[46:47], v[66:67], -v[0:1]
	v_add_f64_e32 v[66:67], v[0:1], v[66:67]
	v_fma_f64 v[0:1], v[2:3], s[24:25], v[108:109]
	v_fma_f64 v[2:3], v[8:9], s[24:25], v[110:111]
	;; [unrolled: 1-line block ×3, first 2 shown]
	v_add_f64_e32 v[32:33], v[18:19], v[24:25]
	v_add_f64_e32 v[108:109], v[4:5], v[6:7]
	v_add_f64_e64 v[24:25], v[18:19], -v[24:25]
	v_add_f64_e64 v[4:5], v[6:7], -v[4:5]
	v_add_f64_e32 v[44:45], v[10:11], v[64:65]
	v_add_f64_e64 v[64:65], v[64:65], -v[10:11]
	v_fma_f64 v[10:11], v[70:71], s[12:13], v[34:35]
	v_add_f64_e32 v[34:35], v[22:23], v[12:13]
	v_fma_f64 v[0:1], v[104:105], s[16:17], v[0:1]
	v_fma_f64 v[2:3], v[106:107], s[16:17], v[2:3]
	v_add_f64_e32 v[8:9], v[8:9], v[112:113]
	v_add_f64_e32 v[104:105], v[14:15], v[252:253]
	v_add_f64_e64 v[14:15], v[252:253], -v[14:15]
	v_add_f64_e32 v[10:11], v[10:11], v[114:115]
	s_delay_alu instid0(VALU_DEP_4) | instskip(SKIP_2) | instid1(VALU_DEP_4)
	v_add_f64_e32 v[68:69], v[2:3], v[8:9]
	v_add_f64_e64 v[112:113], v[8:9], -v[2:3]
	v_add_f64_e32 v[8:9], v[16:17], v[30:31]
	v_add_f64_e64 v[70:71], v[10:11], -v[0:1]
	v_add_f64_e32 v[114:115], v[0:1], v[10:11]
	v_add_f64_e32 v[10:11], v[20:21], v[26:27]
	ds_store_b128 v140, v[248:251]
	ds_store_b128 v140, v[244:247] offset:1008
	ds_store_b128 v140, v[240:243] offset:2016
	;; [unrolled: 1-line block ×20, first 2 shown]
	v_add_f64_e64 v[44:45], v[16:17], -v[30:31]
	v_add_f64_e64 v[50:51], v[20:21], -v[26:27]
	;; [unrolled: 1-line block ×6, first 2 shown]
	v_add_f64_e32 v[0:1], v[10:11], v[8:9]
	v_add_f64_e64 v[36:37], v[104:105], -v[10:11]
	v_add_f64_e64 v[16:17], v[44:45], -v[14:15]
	v_add_f64_e32 v[18:19], v[14:15], v[50:51]
	v_add_f64_e64 v[52:53], v[14:15], -v[50:51]
	v_add_f64_e64 v[14:15], v[24:25], -v[4:5]
	v_add_f64_e64 v[40:41], v[4:5], -v[26:27]
	v_mul_f64_e32 v[20:21], s[22:23], v[6:7]
	v_mul_f64_e32 v[38:39], s[22:23], v[12:13]
	v_add_f64_e32 v[106:107], v[104:105], v[0:1]
	v_add_f64_e32 v[0:1], v[34:35], v[32:33]
	v_mul_f64_e32 v[30:31], s[24:25], v[16:17]
	v_add_f64_e32 v[16:17], v[4:5], v[26:27]
	v_add_f64_e32 v[46:47], v[18:19], v[44:45]
	v_mul_f64_e32 v[22:23], s[24:25], v[14:15]
	v_fma_f64 v[12:13], v[36:37], s[12:13], v[20:21]
	v_fma_f64 v[14:15], v[48:49], s[12:13], v[38:39]
	v_add_f64_e32 v[110:111], v[108:109], v[0:1]
	v_add_f64_e32 v[0:1], v[236:237], v[106:107]
	v_fma_f64 v[4:5], v[52:53], s[14:15], v[30:31]
	v_add_f64_e32 v[42:43], v[16:17], v[24:25]
	s_delay_alu instid0(VALU_DEP_4) | instskip(NEXT) | instid1(VALU_DEP_4)
	v_add_f64_e32 v[2:3], v[238:239], v[110:111]
	v_fma_f64 v[16:17], v[106:107], s[18:19], v[0:1]
	s_delay_alu instid0(VALU_DEP_4) | instskip(SKIP_1) | instid1(VALU_DEP_4)
	v_fma_f64 v[6:7], v[46:47], s[16:17], v[4:5]
	v_fma_f64 v[4:5], v[40:41], s[14:15], v[22:23]
	;; [unrolled: 1-line block ×3, first 2 shown]
	s_delay_alu instid0(VALU_DEP_4) | instskip(NEXT) | instid1(VALU_DEP_3)
	v_add_f64_e32 v[12:13], v[12:13], v[16:17]
	v_fma_f64 v[4:5], v[42:43], s[16:17], v[4:5]
	s_delay_alu instid0(VALU_DEP_3) | instskip(NEXT) | instid1(VALU_DEP_2)
	v_add_f64_e32 v[14:15], v[14:15], v[18:19]
	v_add_f64_e64 v[54:55], v[12:13], -v[4:5]
	s_delay_alu instid0(VALU_DEP_2)
	v_add_f64_e32 v[56:57], v[6:7], v[14:15]
	scratch_store_b128 off, v[54:57], off   ; 16-byte Folded Spill
	s_and_saveexec_b32 s18, vcc_lo
	s_cbranch_execz .LBB0_5
; %bb.4:
	v_add_f64_e64 v[44:45], v[50:51], -v[44:45]
	v_add_f64_e64 v[32:33], v[34:35], -v[32:33]
	v_mul_f64_e32 v[34:35], s[12:13], v[48:49]
	v_mul_f64_e32 v[48:49], s[14:15], v[52:53]
	v_add_f64_e64 v[8:9], v[10:11], -v[8:9]
	v_add_f64_e64 v[10:11], v[26:27], -v[24:25]
	v_mul_f64_e32 v[24:25], s[12:13], v[36:37]
	v_mul_f64_e32 v[26:27], s[14:15], v[40:41]
	s_mov_b32 s13, 0xbfebfeb5
	s_mov_b32 s12, s0
	v_mul_f64_e32 v[36:37], s[16:17], v[46:47]
	v_mul_f64_e32 v[40:41], s[16:17], v[42:43]
	v_add_f64_e64 v[6:7], v[14:15], -v[6:7]
	v_add_f64_e32 v[4:5], v[4:5], v[12:13]
	s_wait_alu 0xfffe
	v_fma_f64 v[30:31], v[44:45], s[12:13], -v[30:31]
	v_fma_f64 v[38:39], v[32:33], s[20:21], -v[38:39]
	;; [unrolled: 1-line block ×8, first 2 shown]
	v_add_f64_e32 v[24:25], v[36:37], v[30:31]
	v_add_f64_e32 v[26:27], v[38:39], v[18:19]
	;; [unrolled: 1-line block ×8, first 2 shown]
	v_add_f64_e64 v[22:23], v[26:27], -v[24:25]
	v_add_f64_e32 v[10:11], v[24:25], v[26:27]
	v_add_f64_e64 v[14:15], v[18:19], -v[30:31]
	v_add_f64_e32 v[18:19], v[30:31], v[18:19]
	v_add_f64_e32 v[20:21], v[34:35], v[32:33]
	v_add_f64_e64 v[16:17], v[8:9], -v[36:37]
	v_add_f64_e32 v[12:13], v[36:37], v[8:9]
	v_add_f64_e64 v[8:9], v[32:33], -v[34:35]
	ds_store_b128 v140, v[0:3] offset:3024
	ds_store_b128 v140, v[4:7] offset:6912
	;; [unrolled: 1-line block ×6, first 2 shown]
	scratch_load_b128 v[0:3], off, off      ; 16-byte Folded Reload
	s_wait_loadcnt 0x0
	ds_store_b128 v140, v[0:3] offset:26352
.LBB0_5:
	s_wait_alu 0xfffe
	s_or_b32 exec_lo, exec_lo, s18
	global_wb scope:SCOPE_SE
	s_wait_storecnt_dscnt 0x0
	s_barrier_signal -1
	s_barrier_wait -1
	global_inv scope:SCOPE_SE
	global_load_b128 v[2:5], v[28:29], off offset:27216
	ds_load_b128 v[6:9], v140
	ds_load_b128 v[23:26], v140 offset:1008
	v_lshlrev_b32_e32 v12, 4, v141
	s_add_nc_u64 s[0:1], s[8:9], 0x6a50
	ds_load_b128 v[17:20], v140 offset:18144
	ds_load_b128 v[35:38], v140 offset:19152
	;; [unrolled: 1-line block ×22, first 2 shown]
	s_mov_b32 s9, 0x3febb67a
	ds_load_b128 v[103:106], v140 offset:8064
	global_load_b128 v[124:127], v12, s[0:1] offset:25200
	s_wait_loadcnt_dscnt 0x118
	v_mul_f64_e32 v[0:1], v[8:9], v[4:5]
	v_mul_f64_e32 v[4:5], v[6:7], v[4:5]
	s_delay_alu instid0(VALU_DEP_2) | instskip(NEXT) | instid1(VALU_DEP_2)
	v_fma_f64 v[0:1], v[6:7], v[2:3], -v[0:1]
	v_fma_f64 v[2:3], v[8:9], v[2:3], v[4:5]
	global_load_b128 v[4:7], v12, s[0:1] offset:9072
	ds_load_b128 v[8:11], v140 offset:9072
	s_wait_loadcnt_dscnt 0x0
	v_mul_f64_e32 v[13:14], v[10:11], v[6:7]
	v_mul_f64_e32 v[15:16], v[8:9], v[6:7]
	s_delay_alu instid0(VALU_DEP_2) | instskip(NEXT) | instid1(VALU_DEP_2)
	v_fma_f64 v[6:7], v[8:9], v[4:5], -v[13:14]
	v_fma_f64 v[8:9], v[10:11], v[4:5], v[15:16]
	global_load_b128 v[13:16], v12, s[0:1] offset:18144
	s_wait_loadcnt 0x0
	v_mul_f64_e32 v[4:5], v[19:20], v[15:16]
	v_mul_f64_e32 v[10:11], v[17:18], v[15:16]
	s_delay_alu instid0(VALU_DEP_2) | instskip(NEXT) | instid1(VALU_DEP_2)
	v_fma_f64 v[15:16], v[17:18], v[13:14], -v[4:5]
	v_fma_f64 v[17:18], v[19:20], v[13:14], v[10:11]
	global_load_b128 v[19:22], v12, s[0:1] offset:1008
	s_wait_loadcnt 0x0
	;; [unrolled: 7-line block ×21, first 2 shown]
	v_mul_f64_e32 v[4:5], v[118:119], v[114:115]
	v_mul_f64_e32 v[10:11], v[116:117], v[114:115]
	s_delay_alu instid0(VALU_DEP_2) | instskip(NEXT) | instid1(VALU_DEP_2)
	v_fma_f64 v[114:115], v[116:117], v[112:113], -v[4:5]
	v_fma_f64 v[116:117], v[118:119], v[112:113], v[10:11]
	v_mul_f64_e32 v[4:5], v[130:131], v[126:127]
	v_mul_f64_e32 v[10:11], v[128:129], v[126:127]
	s_delay_alu instid0(VALU_DEP_2) | instskip(NEXT) | instid1(VALU_DEP_2)
	v_fma_f64 v[126:127], v[128:129], v[124:125], -v[4:5]
	v_fma_f64 v[128:129], v[130:131], v[124:125], v[10:11]
	global_load_b128 v[130:133], v12, s[0:1] offset:8064
	s_wait_loadcnt 0x0
	v_mul_f64_e32 v[4:5], v[105:106], v[132:133]
	v_mul_f64_e32 v[10:11], v[103:104], v[132:133]
	s_delay_alu instid0(VALU_DEP_2) | instskip(NEXT) | instid1(VALU_DEP_2)
	v_fma_f64 v[103:104], v[103:104], v[130:131], -v[4:5]
	v_fma_f64 v[105:106], v[105:106], v[130:131], v[10:11]
	global_load_b128 v[130:133], v12, s[0:1] offset:17136
	s_wait_loadcnt 0x0
	v_mul_f64_e32 v[10:11], v[107:108], v[132:133]
	v_mul_f64_e32 v[4:5], v[109:110], v[132:133]
	s_delay_alu instid0(VALU_DEP_2)
	v_fma_f64 v[109:110], v[109:110], v[130:131], v[10:11]
	global_load_b128 v[10:13], v12, s[0:1] offset:26208
	v_fma_f64 v[107:108], v[107:108], v[130:131], -v[4:5]
	ds_load_b128 v[130:133], v140 offset:26208
	s_mov_b32 s0, 0xe8584caa
	s_mov_b32 s1, 0xbfebb67a
	s_wait_alu 0xfffe
	s_mov_b32 s8, s0
	s_wait_loadcnt_dscnt 0x0
	v_mul_f64_e32 v[4:5], v[132:133], v[12:13]
	v_mul_f64_e32 v[12:13], v[130:131], v[12:13]
	s_delay_alu instid0(VALU_DEP_2) | instskip(NEXT) | instid1(VALU_DEP_2)
	v_fma_f64 v[130:131], v[130:131], v[10:11], -v[4:5]
	v_fma_f64 v[132:133], v[132:133], v[10:11], v[12:13]
	ds_store_b128 v140, v[0:3]
	ds_store_b128 v140, v[21:24] offset:1008
	ds_store_b128 v140, v[15:18] offset:18144
	;; [unrolled: 1-line block ×26, first 2 shown]
	global_wb scope:SCOPE_SE
	s_wait_dscnt 0x0
	s_barrier_signal -1
	s_barrier_wait -1
	global_inv scope:SCOPE_SE
	ds_load_b128 v[4:7], v140 offset:9072
	ds_load_b128 v[0:3], v140
	ds_load_b128 v[8:11], v140 offset:18144
	s_wait_dscnt 0x1
	v_add_f64_e32 v[12:13], v[0:1], v[4:5]
	v_add_f64_e32 v[14:15], v[2:3], v[6:7]
	s_wait_dscnt 0x0
	v_add_f64_e32 v[76:77], v[4:5], v[8:9]
	v_add_f64_e64 v[78:79], v[6:7], -v[10:11]
	v_add_f64_e32 v[80:81], v[6:7], v[10:11]
	v_add_f64_e64 v[82:83], v[4:5], -v[8:9]
	v_add_f64_e32 v[4:5], v[12:13], v[8:9]
	v_add_f64_e32 v[6:7], v[14:15], v[10:11]
	ds_load_b128 v[8:11], v140 offset:1008
	ds_load_b128 v[12:15], v140 offset:10080
	ds_load_b128 v[16:19], v140 offset:19152
	s_wait_dscnt 0x1
	v_add_f64_e32 v[20:21], v[8:9], v[12:13]
	v_add_f64_e32 v[22:23], v[10:11], v[14:15]
	s_wait_dscnt 0x0
	v_add_f64_e32 v[84:85], v[12:13], v[16:17]
	v_add_f64_e64 v[86:87], v[14:15], -v[18:19]
	v_add_f64_e32 v[88:89], v[14:15], v[18:19]
	v_add_f64_e64 v[90:91], v[12:13], -v[16:17]
	v_add_f64_e32 v[12:13], v[20:21], v[16:17]
	v_add_f64_e32 v[14:15], v[22:23], v[18:19]
	ds_load_b128 v[16:19], v140 offset:11088
	ds_load_b128 v[20:23], v140 offset:2016
	;; [unrolled: 13-line block ×8, first 2 shown]
	ds_load_b128 v[72:75], v140 offset:26208
	global_wb scope:SCOPE_SE
	s_wait_dscnt 0x0
	s_barrier_signal -1
	s_barrier_wait -1
	global_inv scope:SCOPE_SE
	v_add_f64_e32 v[142:143], v[64:65], v[68:69]
	v_add_f64_e32 v[146:147], v[68:69], v[72:73]
	v_add_f64_e64 v[152:153], v[68:69], -v[72:73]
	v_add_f64_e32 v[144:145], v[66:67], v[70:71]
	v_add_f64_e64 v[148:149], v[70:71], -v[74:75]
	v_add_f64_e32 v[150:151], v[70:71], v[74:75]
	v_add_f64_e32 v[68:69], v[142:143], v[72:73]
	v_fma_f64 v[72:73], v[76:77], -0.5, v[0:1]
	scratch_load_b32 v76, off, off offset:832 th:TH_LOAD_LU ; 4-byte Folded Reload
	v_add_f64_e32 v[70:71], v[144:145], v[74:75]
	v_fma_f64 v[74:75], v[80:81], -0.5, v[2:3]
	v_fma_f64 v[0:1], v[78:79], s[0:1], v[72:73]
	s_wait_alu 0xfffe
	v_fma_f64 v[72:73], v[78:79], s[8:9], v[72:73]
	s_delay_alu instid0(VALU_DEP_3)
	v_fma_f64 v[2:3], v[82:83], s[8:9], v[74:75]
	v_fma_f64 v[74:75], v[82:83], s[0:1], v[74:75]
	s_wait_loadcnt 0x0
	ds_store_b128 v76, v[4:7]
	ds_store_b128 v76, v[0:3] offset:16
	ds_store_b128 v76, v[72:75] offset:32
	v_fma_f64 v[2:3], v[84:85], -0.5, v[8:9]
	scratch_load_b32 v8, off, off offset:824 th:TH_LOAD_LU ; 4-byte Folded Reload
	v_fma_f64 v[6:7], v[88:89], -0.5, v[10:11]
	v_fma_f64 v[0:1], v[86:87], s[0:1], v[2:3]
	v_fma_f64 v[4:5], v[86:87], s[8:9], v[2:3]
	s_delay_alu instid0(VALU_DEP_3)
	v_fma_f64 v[2:3], v[90:91], s[8:9], v[6:7]
	v_fma_f64 v[6:7], v[90:91], s[0:1], v[6:7]
	s_wait_loadcnt 0x0
	ds_store_b128 v8, v[12:15]
	ds_store_b128 v8, v[0:3] offset:16
	ds_store_b128 v8, v[4:7] offset:32
	scratch_load_b32 v8, off, off offset:800 th:TH_LOAD_LU ; 4-byte Folded Reload
	v_fma_f64 v[2:3], v[92:93], -0.5, v[20:21]
	v_fma_f64 v[6:7], v[96:97], -0.5, v[22:23]
	s_delay_alu instid0(VALU_DEP_2) | instskip(SKIP_1) | instid1(VALU_DEP_3)
	v_fma_f64 v[0:1], v[94:95], s[0:1], v[2:3]
	v_fma_f64 v[4:5], v[94:95], s[8:9], v[2:3]
	v_fma_f64 v[2:3], v[98:99], s[8:9], v[6:7]
	v_fma_f64 v[6:7], v[98:99], s[0:1], v[6:7]
	s_wait_loadcnt 0x0
	ds_store_b128 v8, v[16:19]
	ds_store_b128 v8, v[0:3] offset:16
	ds_store_b128 v8, v[4:7] offset:32
	scratch_load_b32 v8, off, off offset:776 th:TH_LOAD_LU ; 4-byte Folded Reload
	v_fma_f64 v[2:3], v[100:101], -0.5, v[24:25]
	v_fma_f64 v[6:7], v[104:105], -0.5, v[26:27]
	s_delay_alu instid0(VALU_DEP_2) | instskip(SKIP_1) | instid1(VALU_DEP_3)
	v_fma_f64 v[0:1], v[102:103], s[0:1], v[2:3]
	v_fma_f64 v[4:5], v[102:103], s[8:9], v[2:3]
	;; [unrolled: 12-line block ×7, first 2 shown]
	v_fma_f64 v[2:3], v[152:153], s[8:9], v[6:7]
	v_fma_f64 v[6:7], v[152:153], s[0:1], v[6:7]
	s_wait_loadcnt 0x0
	ds_store_b128 v8, v[68:71]
	ds_store_b128 v8, v[0:3] offset:16
	ds_store_b128 v8, v[4:7] offset:32
	global_wb scope:SCOPE_SE
	s_wait_dscnt 0x0
	s_barrier_signal -1
	s_barrier_wait -1
	global_inv scope:SCOPE_SE
	s_clause 0x2
	scratch_load_b128 v[6:9], off, off offset:456 th:TH_LOAD_LU
	scratch_load_b128 v[10:13], off, off offset:472 th:TH_LOAD_LU
	;; [unrolled: 1-line block ×3, first 2 shown]
	ds_load_b128 v[0:3], v140 offset:9072
	s_wait_loadcnt_dscnt 0x200
	v_mul_f64_e32 v[4:5], v[8:9], v[2:3]
	s_delay_alu instid0(VALU_DEP_1) | instskip(SKIP_1) | instid1(VALU_DEP_1)
	v_fma_f64 v[4:5], v[6:7], v[0:1], v[4:5]
	v_mul_f64_e32 v[0:1], v[8:9], v[0:1]
	v_fma_f64 v[6:7], v[6:7], v[2:3], -v[0:1]
	ds_load_b128 v[0:3], v140 offset:18144
	s_wait_loadcnt_dscnt 0x100
	v_mul_f64_e32 v[8:9], v[12:13], v[2:3]
	s_delay_alu instid0(VALU_DEP_1) | instskip(SKIP_1) | instid1(VALU_DEP_1)
	v_fma_f64 v[8:9], v[10:11], v[0:1], v[8:9]
	v_mul_f64_e32 v[0:1], v[12:13], v[0:1]
	v_fma_f64 v[10:11], v[10:11], v[2:3], -v[0:1]
	ds_load_b128 v[0:3], v140 offset:10080
	s_wait_loadcnt_dscnt 0x0
	v_mul_f64_e32 v[12:13], v[16:17], v[2:3]
	s_delay_alu instid0(VALU_DEP_1) | instskip(SKIP_1) | instid1(VALU_DEP_1)
	v_fma_f64 v[44:45], v[14:15], v[0:1], v[12:13]
	v_mul_f64_e32 v[0:1], v[16:17], v[0:1]
	v_fma_f64 v[46:47], v[14:15], v[2:3], -v[0:1]
	scratch_load_b128 v[14:17], off, off offset:504 th:TH_LOAD_LU ; 16-byte Folded Reload
	ds_load_b128 v[0:3], v140 offset:19152
	s_wait_loadcnt_dscnt 0x0
	v_mul_f64_e32 v[12:13], v[16:17], v[2:3]
	s_delay_alu instid0(VALU_DEP_1) | instskip(SKIP_1) | instid1(VALU_DEP_1)
	v_fma_f64 v[48:49], v[14:15], v[0:1], v[12:13]
	v_mul_f64_e32 v[0:1], v[16:17], v[0:1]
	v_fma_f64 v[50:51], v[14:15], v[2:3], -v[0:1]
	scratch_load_b128 v[14:17], off, off offset:520 th:TH_LOAD_LU ; 16-byte Folded Reload
	ds_load_b128 v[0:3], v140 offset:11088
	s_wait_loadcnt_dscnt 0x0
	v_mul_f64_e32 v[12:13], v[16:17], v[2:3]
	s_delay_alu instid0(VALU_DEP_1) | instskip(SKIP_1) | instid1(VALU_DEP_1)
	v_fma_f64 v[52:53], v[14:15], v[0:1], v[12:13]
	v_mul_f64_e32 v[0:1], v[16:17], v[0:1]
	v_fma_f64 v[54:55], v[14:15], v[2:3], -v[0:1]
	;; [unrolled: 8-line block ×14, first 2 shown]
	scratch_load_b128 v[14:17], off, off offset:752 th:TH_LOAD_LU ; 16-byte Folded Reload
	ds_load_b128 v[0:3], v140 offset:26208
	s_wait_loadcnt_dscnt 0x0
	v_mul_f64_e32 v[12:13], v[16:17], v[2:3]
	s_delay_alu instid0(VALU_DEP_1) | instskip(SKIP_2) | instid1(VALU_DEP_2)
	v_fma_f64 v[104:105], v[14:15], v[0:1], v[12:13]
	v_mul_f64_e32 v[0:1], v[16:17], v[0:1]
	v_add_f64_e32 v[12:13], v[4:5], v[8:9]
	v_fma_f64 v[106:107], v[14:15], v[2:3], -v[0:1]
	v_add_f64_e32 v[14:15], v[6:7], v[10:11]
	ds_load_b128 v[0:3], v140
	s_wait_dscnt 0x0
	v_fma_f64 v[12:13], v[12:13], -0.5, v[0:1]
	v_add_f64_e32 v[0:1], v[0:1], v[4:5]
	v_fma_f64 v[14:15], v[14:15], -0.5, v[2:3]
	v_add_f64_e32 v[2:3], v[2:3], v[6:7]
	v_add_f64_e64 v[6:7], v[6:7], -v[10:11]
	s_delay_alu instid0(VALU_DEP_4) | instskip(NEXT) | instid1(VALU_DEP_3)
	v_add_f64_e32 v[0:1], v[0:1], v[8:9]
	v_add_f64_e32 v[2:3], v[2:3], v[10:11]
	v_add_f64_e64 v[10:11], v[4:5], -v[8:9]
	s_delay_alu instid0(VALU_DEP_4) | instskip(SKIP_1) | instid1(VALU_DEP_3)
	v_fma_f64 v[4:5], v[6:7], s[0:1], v[12:13]
	v_fma_f64 v[8:9], v[6:7], s[8:9], v[12:13]
	;; [unrolled: 1-line block ×4, first 2 shown]
	ds_load_b128 v[12:15], v140 offset:8064
	ds_load_b128 v[16:19], v140 offset:1008
	;; [unrolled: 1-line block ×8, first 2 shown]
	global_wb scope:SCOPE_SE
	s_wait_dscnt 0x0
	s_barrier_signal -1
	s_barrier_wait -1
	global_inv scope:SCOPE_SE
	scratch_load_b32 v108, off, off offset:836 th:TH_LOAD_LU ; 4-byte Folded Reload
	s_wait_loadcnt 0x0
	ds_store_b128 v108, v[0:3]
	ds_store_b128 v108, v[4:7] offset:48
	ds_store_b128 v108, v[8:11] offset:96
	v_add_f64_e32 v[0:1], v[44:45], v[48:49]
	v_add_f64_e32 v[4:5], v[16:17], v[44:45]
	v_add_f64_e64 v[8:9], v[46:47], -v[50:51]
	s_delay_alu instid0(VALU_DEP_3) | instskip(SKIP_2) | instid1(VALU_DEP_2)
	v_fma_f64 v[6:7], v[0:1], -0.5, v[16:17]
	v_add_f64_e32 v[0:1], v[46:47], v[50:51]
	v_add_f64_e64 v[16:17], v[44:45], -v[48:49]
	v_fma_f64 v[10:11], v[0:1], -0.5, v[18:19]
	v_add_f64_e32 v[0:1], v[18:19], v[46:47]
	s_delay_alu instid0(VALU_DEP_1)
	v_add_f64_e32 v[2:3], v[0:1], v[50:51]
	v_add_f64_e32 v[0:1], v[4:5], v[48:49]
	v_fma_f64 v[4:5], v[8:9], s[0:1], v[6:7]
	v_fma_f64 v[8:9], v[8:9], s[8:9], v[6:7]
	v_fma_f64 v[6:7], v[16:17], s[8:9], v[10:11]
	v_fma_f64 v[10:11], v[16:17], s[0:1], v[10:11]
	scratch_load_b32 v16, off, off offset:828 th:TH_LOAD_LU ; 4-byte Folded Reload
	s_wait_loadcnt 0x0
	ds_store_b128 v16, v[0:3]
	ds_store_b128 v16, v[4:7] offset:48
	ds_store_b128 v16, v[8:11] offset:96
	v_add_f64_e32 v[0:1], v[52:53], v[56:57]
	v_add_f64_e32 v[4:5], v[20:21], v[52:53]
	v_add_f64_e64 v[8:9], v[54:55], -v[58:59]
	v_add_f64_e64 v[16:17], v[52:53], -v[56:57]
	s_delay_alu instid0(VALU_DEP_4) | instskip(SKIP_1) | instid1(VALU_DEP_1)
	v_fma_f64 v[6:7], v[0:1], -0.5, v[20:21]
	v_add_f64_e32 v[0:1], v[54:55], v[58:59]
	v_fma_f64 v[10:11], v[0:1], -0.5, v[22:23]
	v_add_f64_e32 v[0:1], v[22:23], v[54:55]
	s_delay_alu instid0(VALU_DEP_1)
	v_add_f64_e32 v[2:3], v[0:1], v[58:59]
	v_add_f64_e32 v[0:1], v[4:5], v[56:57]
	v_fma_f64 v[4:5], v[8:9], s[0:1], v[6:7]
	v_fma_f64 v[8:9], v[8:9], s[8:9], v[6:7]
	v_fma_f64 v[6:7], v[16:17], s[8:9], v[10:11]
	v_fma_f64 v[10:11], v[16:17], s[0:1], v[10:11]
	scratch_load_b32 v16, off, off offset:804 th:TH_LOAD_LU ; 4-byte Folded Reload
	s_wait_loadcnt 0x0
	ds_store_b128 v16, v[0:3]
	ds_store_b128 v16, v[4:7] offset:48
	ds_store_b128 v16, v[8:11] offset:96
	v_add_f64_e32 v[0:1], v[60:61], v[64:65]
	v_add_f64_e32 v[4:5], v[24:25], v[60:61]
	v_add_f64_e64 v[8:9], v[62:63], -v[66:67]
	v_add_f64_e64 v[16:17], v[60:61], -v[64:65]
	s_delay_alu instid0(VALU_DEP_4) | instskip(SKIP_1) | instid1(VALU_DEP_1)
	v_fma_f64 v[6:7], v[0:1], -0.5, v[24:25]
	v_add_f64_e32 v[0:1], v[62:63], v[66:67]
	;; [unrolled: 21-line block ×6, first 2 shown]
	v_fma_f64 v[10:11], v[0:1], -0.5, v[42:43]
	v_add_f64_e32 v[0:1], v[42:43], v[94:95]
	s_delay_alu instid0(VALU_DEP_1)
	v_add_f64_e32 v[2:3], v[0:1], v[98:99]
	v_add_f64_e32 v[0:1], v[4:5], v[96:97]
	v_fma_f64 v[4:5], v[8:9], s[0:1], v[6:7]
	v_fma_f64 v[8:9], v[8:9], s[8:9], v[6:7]
	;; [unrolled: 1-line block ×4, first 2 shown]
	scratch_load_b32 v16, off, off offset:1556 th:TH_LOAD_LU ; 4-byte Folded Reload
	s_wait_loadcnt 0x0
	ds_store_b128 v16, v[0:3]
	ds_store_b128 v16, v[4:7] offset:48
	ds_store_b128 v16, v[8:11] offset:96
	v_add_f64_e32 v[0:1], v[100:101], v[104:105]
	v_add_f64_e32 v[4:5], v[12:13], v[100:101]
	v_add_f64_e64 v[8:9], v[102:103], -v[106:107]
	s_delay_alu instid0(VALU_DEP_3) | instskip(SKIP_2) | instid1(VALU_DEP_2)
	v_fma_f64 v[6:7], v[0:1], -0.5, v[12:13]
	v_add_f64_e32 v[0:1], v[102:103], v[106:107]
	v_add_f64_e64 v[12:13], v[100:101], -v[104:105]
	v_fma_f64 v[10:11], v[0:1], -0.5, v[14:15]
	v_add_f64_e32 v[0:1], v[14:15], v[102:103]
	s_delay_alu instid0(VALU_DEP_1)
	v_add_f64_e32 v[2:3], v[0:1], v[106:107]
	v_add_f64_e32 v[0:1], v[4:5], v[104:105]
	v_fma_f64 v[4:5], v[8:9], s[0:1], v[6:7]
	v_fma_f64 v[8:9], v[8:9], s[8:9], v[6:7]
	;; [unrolled: 1-line block ×4, first 2 shown]
	scratch_load_b32 v12, off, off offset:1424 th:TH_LOAD_LU ; 4-byte Folded Reload
	s_wait_loadcnt 0x0
	ds_store_b128 v12, v[0:3]
	ds_store_b128 v12, v[4:7] offset:48
	ds_store_b128 v12, v[8:11] offset:96
	global_wb scope:SCOPE_SE
	s_wait_dscnt 0x0
	s_barrier_signal -1
	s_barrier_wait -1
	global_inv scope:SCOPE_SE
	s_clause 0x1
	scratch_load_b128 v[6:9], off, off offset:780 th:TH_LOAD_LU
	scratch_load_b128 v[42:45], off, off offset:1472 th:TH_LOAD_LU
	ds_load_b128 v[0:3], v140 offset:9072
	s_wait_loadcnt_dscnt 0x100
	v_mul_f64_e32 v[4:5], v[8:9], v[2:3]
	s_delay_alu instid0(VALU_DEP_1) | instskip(SKIP_1) | instid1(VALU_DEP_1)
	v_fma_f64 v[38:39], v[6:7], v[0:1], v[4:5]
	v_mul_f64_e32 v[0:1], v[8:9], v[0:1]
	v_fma_f64 v[34:35], v[6:7], v[2:3], -v[0:1]
	scratch_load_b128 v[6:9], off, off offset:808 th:TH_LOAD_LU ; 16-byte Folded Reload
	ds_load_b128 v[0:3], v140 offset:18144
	s_wait_loadcnt_dscnt 0x0
	v_mul_f64_e32 v[4:5], v[8:9], v[2:3]
	s_delay_alu instid0(VALU_DEP_1) | instskip(SKIP_1) | instid1(VALU_DEP_1)
	v_fma_f64 v[40:41], v[6:7], v[0:1], v[4:5]
	v_mul_f64_e32 v[0:1], v[8:9], v[0:1]
	v_fma_f64 v[36:37], v[6:7], v[2:3], -v[0:1]
	scratch_load_b128 v[6:9], off, off offset:840 th:TH_LOAD_LU ; 16-byte Folded Reload
	ds_load_b128 v[0:3], v140 offset:10080
	v_add_f64_e64 v[46:47], v[34:35], -v[36:37]
	s_wait_loadcnt_dscnt 0x0
	v_mul_f64_e32 v[4:5], v[8:9], v[2:3]
	s_delay_alu instid0(VALU_DEP_1) | instskip(SKIP_1) | instid1(VALU_DEP_1)
	v_fma_f64 v[74:75], v[6:7], v[0:1], v[4:5]
	v_mul_f64_e32 v[0:1], v[8:9], v[0:1]
	v_fma_f64 v[76:77], v[6:7], v[2:3], -v[0:1]
	scratch_load_b128 v[6:9], off, off offset:856 th:TH_LOAD_LU ; 16-byte Folded Reload
	ds_load_b128 v[0:3], v140 offset:19152
	s_wait_loadcnt_dscnt 0x0
	v_mul_f64_e32 v[4:5], v[8:9], v[2:3]
	s_delay_alu instid0(VALU_DEP_1) | instskip(SKIP_1) | instid1(VALU_DEP_1)
	v_fma_f64 v[78:79], v[6:7], v[0:1], v[4:5]
	v_mul_f64_e32 v[0:1], v[8:9], v[0:1]
	v_fma_f64 v[80:81], v[6:7], v[2:3], -v[0:1]
	scratch_load_b128 v[6:9], off, off offset:872 th:TH_LOAD_LU ; 16-byte Folded Reload
	ds_load_b128 v[0:3], v140 offset:11088
	;; [unrolled: 8-line block ×14, first 2 shown]
	s_wait_loadcnt_dscnt 0x0
	v_mul_f64_e32 v[4:5], v[8:9], v[2:3]
	s_delay_alu instid0(VALU_DEP_1) | instskip(SKIP_1) | instid1(VALU_DEP_1)
	v_fma_f64 v[4:5], v[6:7], v[0:1], v[4:5]
	v_mul_f64_e32 v[0:1], v[8:9], v[0:1]
	v_fma_f64 v[6:7], v[6:7], v[2:3], -v[0:1]
	ds_load_b128 v[0:3], v140 offset:26208
	s_wait_dscnt 0x0
	v_mul_f64_e32 v[8:9], v[44:45], v[2:3]
	s_delay_alu instid0(VALU_DEP_1) | instskip(SKIP_2) | instid1(VALU_DEP_2)
	v_fma_f64 v[8:9], v[42:43], v[0:1], v[8:9]
	v_mul_f64_e32 v[0:1], v[44:45], v[0:1]
	v_add_f64_e32 v[44:45], v[34:35], v[36:37]
	v_fma_f64 v[10:11], v[42:43], v[2:3], -v[0:1]
	v_add_f64_e32 v[42:43], v[38:39], v[40:41]
	ds_load_b128 v[0:3], v140
	s_wait_dscnt 0x0
	v_fma_f64 v[44:45], v[44:45], -0.5, v[2:3]
	v_add_f64_e32 v[2:3], v[2:3], v[34:35]
	v_fma_f64 v[42:43], v[42:43], -0.5, v[0:1]
	v_add_f64_e32 v[0:1], v[0:1], v[38:39]
	s_delay_alu instid0(VALU_DEP_3) | instskip(NEXT) | instid1(VALU_DEP_2)
	v_add_f64_e32 v[36:37], v[2:3], v[36:37]
	v_add_f64_e32 v[34:35], v[0:1], v[40:41]
	v_add_f64_e64 v[0:1], v[38:39], -v[40:41]
	v_fma_f64 v[38:39], v[46:47], s[0:1], v[42:43]
	v_fma_f64 v[42:43], v[46:47], s[8:9], v[42:43]
	s_delay_alu instid0(VALU_DEP_3)
	v_fma_f64 v[40:41], v[0:1], s[8:9], v[44:45]
	v_fma_f64 v[44:45], v[0:1], s[0:1], v[44:45]
	ds_load_b128 v[0:3], v140 offset:8064
	ds_load_b128 v[46:49], v140 offset:1008
	;; [unrolled: 1-line block ×8, first 2 shown]
	global_wb scope:SCOPE_SE
	s_wait_dscnt 0x0
	s_barrier_signal -1
	s_barrier_wait -1
	global_inv scope:SCOPE_SE
	scratch_load_b32 v108, off, off offset:1740 th:TH_LOAD_LU ; 4-byte Folded Reload
	s_wait_loadcnt 0x0
	ds_store_b128 v108, v[34:37]
	ds_store_b128 v108, v[38:41] offset:144
	ds_store_b128 v108, v[42:45] offset:288
	v_add_f64_e32 v[34:35], v[74:75], v[78:79]
	v_add_f64_e32 v[38:39], v[46:47], v[74:75]
	v_add_f64_e64 v[42:43], v[76:77], -v[80:81]
	s_delay_alu instid0(VALU_DEP_3) | instskip(SKIP_2) | instid1(VALU_DEP_2)
	v_fma_f64 v[40:41], v[34:35], -0.5, v[46:47]
	v_add_f64_e32 v[34:35], v[76:77], v[80:81]
	v_add_f64_e64 v[46:47], v[74:75], -v[78:79]
	v_fma_f64 v[44:45], v[34:35], -0.5, v[48:49]
	v_add_f64_e32 v[34:35], v[48:49], v[76:77]
	s_delay_alu instid0(VALU_DEP_1)
	v_add_f64_e32 v[36:37], v[34:35], v[80:81]
	v_add_f64_e32 v[34:35], v[38:39], v[78:79]
	v_fma_f64 v[38:39], v[42:43], s[0:1], v[40:41]
	v_fma_f64 v[42:43], v[42:43], s[8:9], v[40:41]
	v_fma_f64 v[40:41], v[46:47], s[8:9], v[44:45]
	v_fma_f64 v[44:45], v[46:47], s[0:1], v[44:45]
	scratch_load_b32 v46, off, off offset:1704 th:TH_LOAD_LU ; 4-byte Folded Reload
	s_wait_loadcnt 0x0
	ds_store_b128 v46, v[34:37]
	ds_store_b128 v46, v[38:41] offset:144
	ds_store_b128 v46, v[42:45] offset:288
	v_add_f64_e32 v[34:35], v[82:83], v[86:87]
	v_add_f64_e32 v[38:39], v[50:51], v[82:83]
	v_add_f64_e64 v[42:43], v[84:85], -v[88:89]
	v_add_f64_e64 v[46:47], v[82:83], -v[86:87]
	s_delay_alu instid0(VALU_DEP_4) | instskip(SKIP_1) | instid1(VALU_DEP_1)
	v_fma_f64 v[40:41], v[34:35], -0.5, v[50:51]
	v_add_f64_e32 v[34:35], v[84:85], v[88:89]
	v_fma_f64 v[44:45], v[34:35], -0.5, v[52:53]
	v_add_f64_e32 v[34:35], v[52:53], v[84:85]
	s_delay_alu instid0(VALU_DEP_1)
	v_add_f64_e32 v[36:37], v[34:35], v[88:89]
	v_add_f64_e32 v[34:35], v[38:39], v[86:87]
	v_fma_f64 v[38:39], v[42:43], s[0:1], v[40:41]
	v_fma_f64 v[42:43], v[42:43], s[8:9], v[40:41]
	v_fma_f64 v[40:41], v[46:47], s[8:9], v[44:45]
	v_fma_f64 v[44:45], v[46:47], s[0:1], v[44:45]
	scratch_load_b32 v46, off, off offset:1232 th:TH_LOAD_LU ; 4-byte Folded Reload
	s_wait_loadcnt 0x0
	ds_store_b128 v46, v[34:37]
	ds_store_b128 v46, v[38:41] offset:144
	ds_store_b128 v46, v[42:45] offset:288
	v_add_f64_e32 v[34:35], v[90:91], v[94:95]
	v_add_f64_e32 v[38:39], v[54:55], v[90:91]
	v_add_f64_e64 v[42:43], v[92:93], -v[96:97]
	v_add_f64_e64 v[46:47], v[90:91], -v[94:95]
	s_delay_alu instid0(VALU_DEP_4) | instskip(SKIP_1) | instid1(VALU_DEP_1)
	v_fma_f64 v[40:41], v[34:35], -0.5, v[54:55]
	v_add_f64_e32 v[34:35], v[92:93], v[96:97]
	;; [unrolled: 21-line block ×3, first 2 shown]
	v_fma_f64 v[44:45], v[34:35], -0.5, v[60:61]
	v_add_f64_e32 v[34:35], v[60:61], v[100:101]
	s_delay_alu instid0(VALU_DEP_1)
	v_add_f64_e32 v[36:37], v[34:35], v[104:105]
	v_add_f64_e32 v[34:35], v[38:39], v[102:103]
	v_fma_f64 v[38:39], v[42:43], s[0:1], v[40:41]
	v_fma_f64 v[42:43], v[42:43], s[8:9], v[40:41]
	;; [unrolled: 1-line block ×4, first 2 shown]
	scratch_load_b32 v46, off, off offset:1160 th:TH_LOAD_LU ; 4-byte Folded Reload
	s_wait_loadcnt 0x0
	ds_store_b128 v46, v[34:37]
	ds_store_b128 v46, v[38:41] offset:144
	ds_store_b128 v46, v[42:45] offset:288
	v_add_f64_e32 v[34:35], v[28:29], v[32:33]
	v_add_f64_e32 v[42:43], v[62:63], v[28:29]
	s_delay_alu instid0(VALU_DEP_2) | instskip(SKIP_1) | instid1(VALU_DEP_1)
	v_fma_f64 v[38:39], v[34:35], -0.5, v[62:63]
	v_add_f64_e32 v[34:35], v[30:31], v[106:107]
	v_fma_f64 v[40:41], v[34:35], -0.5, v[64:65]
	v_add_f64_e32 v[34:35], v[64:65], v[30:31]
	v_add_f64_e64 v[30:31], v[30:31], -v[106:107]
	s_delay_alu instid0(VALU_DEP_2) | instskip(SKIP_2) | instid1(VALU_DEP_4)
	v_add_f64_e32 v[36:37], v[34:35], v[106:107]
	v_add_f64_e32 v[34:35], v[42:43], v[32:33]
	v_add_f64_e64 v[32:33], v[28:29], -v[32:33]
	v_fma_f64 v[28:29], v[30:31], s[0:1], v[38:39]
	v_fma_f64 v[38:39], v[30:31], s[8:9], v[38:39]
	s_delay_alu instid0(VALU_DEP_3)
	v_fma_f64 v[30:31], v[32:33], s[8:9], v[40:41]
	v_fma_f64 v[40:41], v[32:33], s[0:1], v[40:41]
	scratch_load_b32 v32, off, off offset:1124 th:TH_LOAD_LU ; 4-byte Folded Reload
	s_wait_loadcnt 0x0
	ds_store_b128 v32, v[34:37]
	ds_store_b128 v32, v[28:31] offset:144
	ds_store_b128 v32, v[38:41] offset:288
	v_add_f64_e32 v[28:29], v[20:21], v[24:25]
	v_add_f64_e32 v[34:35], v[66:67], v[20:21]
	s_delay_alu instid0(VALU_DEP_2) | instskip(SKIP_1) | instid1(VALU_DEP_1)
	v_fma_f64 v[30:31], v[28:29], -0.5, v[66:67]
	v_add_f64_e32 v[28:29], v[22:23], v[26:27]
	v_fma_f64 v[32:33], v[28:29], -0.5, v[68:69]
	v_add_f64_e32 v[28:29], v[68:69], v[22:23]
	v_add_f64_e64 v[22:23], v[22:23], -v[26:27]
	s_delay_alu instid0(VALU_DEP_2) | instskip(SKIP_2) | instid1(VALU_DEP_4)
	v_add_f64_e32 v[28:29], v[28:29], v[26:27]
	v_add_f64_e32 v[26:27], v[34:35], v[24:25]
	v_add_f64_e64 v[24:25], v[20:21], -v[24:25]
	v_fma_f64 v[20:21], v[22:23], s[0:1], v[30:31]
	v_fma_f64 v[30:31], v[22:23], s[8:9], v[30:31]
	s_delay_alu instid0(VALU_DEP_3)
	v_fma_f64 v[22:23], v[24:25], s[8:9], v[32:33]
	v_fma_f64 v[32:33], v[24:25], s[0:1], v[32:33]
	;; [unrolled: 22-line block ×3, first 2 shown]
	scratch_load_b32 v16, off, off offset:1020 th:TH_LOAD_LU ; 4-byte Folded Reload
	s_wait_loadcnt 0x0
	ds_store_b128 v16, v[18:21]
	ds_store_b128 v16, v[12:15] offset:144
	ds_store_b128 v16, v[22:25] offset:288
	v_add_f64_e32 v[12:13], v[4:5], v[8:9]
	v_add_f64_e32 v[14:15], v[6:7], v[10:11]
	s_delay_alu instid0(VALU_DEP_2) | instskip(NEXT) | instid1(VALU_DEP_2)
	v_fma_f64 v[12:13], v[12:13], -0.5, v[0:1]
	v_fma_f64 v[14:15], v[14:15], -0.5, v[2:3]
	v_add_f64_e32 v[2:3], v[2:3], v[6:7]
	v_add_f64_e32 v[0:1], v[0:1], v[4:5]
	v_add_f64_e64 v[6:7], v[6:7], -v[10:11]
	s_delay_alu instid0(VALU_DEP_3) | instskip(NEXT) | instid1(VALU_DEP_3)
	v_add_f64_e32 v[2:3], v[2:3], v[10:11]
	v_add_f64_e32 v[0:1], v[0:1], v[8:9]
	v_add_f64_e64 v[10:11], v[4:5], -v[8:9]
	s_delay_alu instid0(VALU_DEP_4)
	v_fma_f64 v[4:5], v[6:7], s[0:1], v[12:13]
	v_fma_f64 v[8:9], v[6:7], s[8:9], v[12:13]
	scratch_load_b32 v12, off, off offset:984 th:TH_LOAD_LU ; 4-byte Folded Reload
	v_fma_f64 v[6:7], v[10:11], s[8:9], v[14:15]
	v_fma_f64 v[10:11], v[10:11], s[0:1], v[14:15]
	s_wait_loadcnt 0x0
	ds_store_b128 v12, v[0:3]
	ds_store_b128 v12, v[4:7] offset:144
	ds_store_b128 v12, v[8:11] offset:288
	global_wb scope:SCOPE_SE
	s_wait_dscnt 0x0
	s_barrier_signal -1
	s_barrier_wait -1
	global_inv scope:SCOPE_SE
	s_clause 0x1
	scratch_load_b128 v[6:9], off, off offset:952 th:TH_LOAD_LU
	scratch_load_b128 v[46:49], off, off offset:1636 th:TH_LOAD_LU
	ds_load_b128 v[0:3], v140 offset:9072
	ds_load_b128 v[34:37], v140 offset:25200
	s_wait_loadcnt_dscnt 0x101
	v_mul_f64_e32 v[4:5], v[8:9], v[2:3]
	s_delay_alu instid0(VALU_DEP_1) | instskip(SKIP_1) | instid1(VALU_DEP_1)
	v_fma_f64 v[38:39], v[6:7], v[0:1], v[4:5]
	v_mul_f64_e32 v[0:1], v[8:9], v[0:1]
	v_fma_f64 v[40:41], v[6:7], v[2:3], -v[0:1]
	scratch_load_b128 v[6:9], off, off offset:988 th:TH_LOAD_LU ; 16-byte Folded Reload
	ds_load_b128 v[0:3], v140 offset:18144
	s_wait_loadcnt_dscnt 0x0
	v_mul_f64_e32 v[4:5], v[8:9], v[2:3]
	s_delay_alu instid0(VALU_DEP_1) | instskip(SKIP_1) | instid1(VALU_DEP_1)
	v_fma_f64 v[42:43], v[6:7], v[0:1], v[4:5]
	v_mul_f64_e32 v[0:1], v[8:9], v[0:1]
	v_fma_f64 v[44:45], v[6:7], v[2:3], -v[0:1]
	scratch_load_b128 v[6:9], off, off offset:1004 th:TH_LOAD_LU ; 16-byte Folded Reload
	;; [unrolled: 8-line block ×11, first 2 shown]
	ds_load_b128 v[0:3], v140 offset:23184
	s_wait_loadcnt_dscnt 0x0
	v_mul_f64_e32 v[4:5], v[8:9], v[2:3]
	s_delay_alu instid0(VALU_DEP_1)
	v_fma_f64 v[24:25], v[6:7], v[0:1], v[4:5]
	v_mul_f64_e32 v[0:1], v[8:9], v[0:1]
	scratch_load_b128 v[8:11], off, off offset:1492 th:TH_LOAD_LU ; 16-byte Folded Reload
	v_fma_f64 v[28:29], v[6:7], v[2:3], -v[0:1]
	ds_load_b128 v[0:3], v140 offset:15120
	s_wait_loadcnt_dscnt 0x0
	v_mul_f64_e32 v[4:5], v[10:11], v[2:3]
	s_delay_alu instid0(VALU_DEP_1) | instskip(SKIP_1) | instid1(VALU_DEP_1)
	v_fma_f64 v[6:7], v[8:9], v[0:1], v[4:5]
	v_mul_f64_e32 v[0:1], v[10:11], v[0:1]
	v_fma_f64 v[12:13], v[8:9], v[2:3], -v[0:1]
	scratch_load_b128 v[8:11], off, off offset:1564 th:TH_LOAD_LU ; 16-byte Folded Reload
	ds_load_b128 v[0:3], v140 offset:24192
	s_wait_loadcnt_dscnt 0x0
	v_mul_f64_e32 v[4:5], v[10:11], v[2:3]
	s_delay_alu instid0(VALU_DEP_1) | instskip(SKIP_1) | instid1(VALU_DEP_1)
	v_fma_f64 v[14:15], v[8:9], v[0:1], v[4:5]
	v_mul_f64_e32 v[0:1], v[10:11], v[0:1]
	v_fma_f64 v[18:19], v[8:9], v[2:3], -v[0:1]
	scratch_load_b128 v[8:11], off, off offset:1652 th:TH_LOAD_LU ; 16-byte Folded Reload
	ds_load_b128 v[2:5], v140 offset:16128
	s_wait_loadcnt_dscnt 0x0
	v_mul_f64_e32 v[0:1], v[10:11], v[4:5]
	s_delay_alu instid0(VALU_DEP_1) | instskip(SKIP_1) | instid1(VALU_DEP_1)
	v_fma_f64 v[0:1], v[8:9], v[2:3], v[0:1]
	v_mul_f64_e32 v[2:3], v[10:11], v[2:3]
	v_fma_f64 v[2:3], v[8:9], v[4:5], -v[2:3]
	v_mul_f64_e32 v[4:5], v[48:49], v[36:37]
	s_delay_alu instid0(VALU_DEP_1) | instskip(SKIP_1) | instid1(VALU_DEP_1)
	v_fma_f64 v[8:9], v[46:47], v[34:35], v[4:5]
	v_mul_f64_e32 v[4:5], v[48:49], v[34:35]
	v_fma_f64 v[16:17], v[46:47], v[36:37], -v[4:5]
	scratch_load_b128 v[46:49], off, off offset:1724 th:TH_LOAD_LU ; 16-byte Folded Reload
	ds_load_b128 v[34:37], v140 offset:17136
	s_wait_loadcnt_dscnt 0x0
	v_mul_f64_e32 v[4:5], v[48:49], v[36:37]
	v_mul_f64_e32 v[10:11], v[48:49], v[34:35]
	s_delay_alu instid0(VALU_DEP_2) | instskip(NEXT) | instid1(VALU_DEP_2)
	v_fma_f64 v[4:5], v[46:47], v[34:35], v[4:5]
	v_fma_f64 v[10:11], v[46:47], v[36:37], -v[10:11]
	scratch_load_b128 v[46:49], off, off offset:1684 th:TH_LOAD_LU ; 16-byte Folded Reload
	ds_load_b128 v[34:37], v140 offset:26208
	s_wait_loadcnt_dscnt 0x0
	v_mul_f64_e32 v[26:27], v[48:49], v[36:37]
	v_mul_f64_e32 v[30:31], v[48:49], v[34:35]
	v_add_f64_e32 v[48:49], v[40:41], v[44:45]
	s_delay_alu instid0(VALU_DEP_3) | instskip(NEXT) | instid1(VALU_DEP_3)
	v_fma_f64 v[26:27], v[46:47], v[34:35], v[26:27]
	v_fma_f64 v[30:31], v[46:47], v[36:37], -v[30:31]
	ds_load_b128 v[34:37], v140
	v_add_f64_e32 v[46:47], v[38:39], v[42:43]
	s_wait_dscnt 0x0
	v_fma_f64 v[48:49], v[48:49], -0.5, v[36:37]
	v_add_f64_e32 v[36:37], v[36:37], v[40:41]
	v_add_f64_e64 v[40:41], v[40:41], -v[44:45]
	s_delay_alu instid0(VALU_DEP_4) | instskip(SKIP_1) | instid1(VALU_DEP_4)
	v_fma_f64 v[46:47], v[46:47], -0.5, v[34:35]
	v_add_f64_e32 v[34:35], v[34:35], v[38:39]
	v_add_f64_e32 v[36:37], v[36:37], v[44:45]
	v_add_f64_e64 v[44:45], v[38:39], -v[42:43]
	s_delay_alu instid0(VALU_DEP_4) | instskip(NEXT) | instid1(VALU_DEP_4)
	v_fma_f64 v[38:39], v[40:41], s[0:1], v[46:47]
	v_add_f64_e32 v[34:35], v[34:35], v[42:43]
	v_fma_f64 v[42:43], v[40:41], s[8:9], v[46:47]
	s_delay_alu instid0(VALU_DEP_4)
	v_fma_f64 v[40:41], v[44:45], s[8:9], v[48:49]
	v_fma_f64 v[44:45], v[44:45], s[0:1], v[48:49]
	ds_load_b128 v[46:49], v140 offset:8064
	ds_load_b128 v[50:53], v140 offset:1008
	ds_load_b128 v[54:57], v140 offset:2016
	ds_load_b128 v[58:61], v140 offset:3024
	ds_load_b128 v[62:65], v140 offset:4032
	ds_load_b128 v[66:69], v140 offset:5040
	ds_load_b128 v[70:73], v140 offset:6048
	ds_load_b128 v[74:77], v140 offset:7056
	global_wb scope:SCOPE_SE
	s_wait_dscnt 0x0
	s_barrier_signal -1
	s_barrier_wait -1
	global_inv scope:SCOPE_SE
	scratch_load_b32 v108, off, off offset:1700 th:TH_LOAD_LU ; 4-byte Folded Reload
	s_wait_loadcnt 0x0
	ds_store_b128 v108, v[34:37]
	ds_store_b128 v108, v[38:41] offset:432
	ds_store_b128 v108, v[42:45] offset:864
	v_add_f64_e32 v[34:35], v[78:79], v[82:83]
	v_add_f64_e32 v[38:39], v[50:51], v[78:79]
	v_add_f64_e64 v[42:43], v[80:81], -v[84:85]
	s_delay_alu instid0(VALU_DEP_3) | instskip(SKIP_2) | instid1(VALU_DEP_2)
	v_fma_f64 v[40:41], v[34:35], -0.5, v[50:51]
	v_add_f64_e32 v[34:35], v[80:81], v[84:85]
	v_add_f64_e64 v[50:51], v[78:79], -v[82:83]
	v_fma_f64 v[44:45], v[34:35], -0.5, v[52:53]
	v_add_f64_e32 v[34:35], v[52:53], v[80:81]
	s_delay_alu instid0(VALU_DEP_1)
	v_add_f64_e32 v[36:37], v[34:35], v[84:85]
	v_add_f64_e32 v[34:35], v[38:39], v[82:83]
	v_fma_f64 v[38:39], v[42:43], s[0:1], v[40:41]
	v_fma_f64 v[42:43], v[42:43], s[8:9], v[40:41]
	v_fma_f64 v[40:41], v[50:51], s[8:9], v[44:45]
	v_fma_f64 v[44:45], v[50:51], s[0:1], v[44:45]
	scratch_load_b32 v50, off, off offset:1632 th:TH_LOAD_LU ; 4-byte Folded Reload
	s_wait_loadcnt 0x0
	ds_store_b128 v50, v[34:37]
	ds_store_b128 v50, v[38:41] offset:432
	ds_store_b128 v50, v[42:45] offset:864
	v_add_f64_e32 v[34:35], v[86:87], v[90:91]
	v_add_f64_e32 v[38:39], v[54:55], v[86:87]
	v_add_f64_e64 v[42:43], v[88:89], -v[92:93]
	v_add_f64_e64 v[50:51], v[86:87], -v[90:91]
	s_delay_alu instid0(VALU_DEP_4) | instskip(SKIP_1) | instid1(VALU_DEP_1)
	v_fma_f64 v[40:41], v[34:35], -0.5, v[54:55]
	v_add_f64_e32 v[34:35], v[88:89], v[92:93]
	v_fma_f64 v[44:45], v[34:35], -0.5, v[56:57]
	v_add_f64_e32 v[34:35], v[56:57], v[88:89]
	s_delay_alu instid0(VALU_DEP_1)
	v_add_f64_e32 v[36:37], v[34:35], v[92:93]
	v_add_f64_e32 v[34:35], v[38:39], v[90:91]
	v_fma_f64 v[38:39], v[42:43], s[0:1], v[40:41]
	v_fma_f64 v[42:43], v[42:43], s[8:9], v[40:41]
	v_fma_f64 v[40:41], v[50:51], s[8:9], v[44:45]
	v_fma_f64 v[44:45], v[50:51], s[0:1], v[44:45]
	scratch_load_b32 v50, off, off offset:1612 th:TH_LOAD_LU ; 4-byte Folded Reload
	s_wait_loadcnt 0x0
	ds_store_b128 v50, v[34:37]
	ds_store_b128 v50, v[38:41] offset:432
	ds_store_b128 v50, v[42:45] offset:864
	v_add_f64_e32 v[34:35], v[94:95], v[98:99]
	v_add_f64_e32 v[38:39], v[58:59], v[94:95]
	v_add_f64_e64 v[42:43], v[96:97], -v[100:101]
	v_add_f64_e64 v[50:51], v[94:95], -v[98:99]
	s_delay_alu instid0(VALU_DEP_4) | instskip(SKIP_1) | instid1(VALU_DEP_1)
	v_fma_f64 v[40:41], v[34:35], -0.5, v[58:59]
	v_add_f64_e32 v[34:35], v[96:97], v[100:101]
	;; [unrolled: 21-line block ×3, first 2 shown]
	v_fma_f64 v[44:45], v[34:35], -0.5, v[64:65]
	v_add_f64_e32 v[34:35], v[64:65], v[102:103]
	s_delay_alu instid0(VALU_DEP_1)
	v_add_f64_e32 v[36:37], v[34:35], v[106:107]
	v_add_f64_e32 v[34:35], v[38:39], v[104:105]
	v_fma_f64 v[38:39], v[42:43], s[0:1], v[40:41]
	v_fma_f64 v[42:43], v[42:43], s[8:9], v[40:41]
	;; [unrolled: 1-line block ×4, first 2 shown]
	scratch_load_b32 v32, off, off offset:1488 th:TH_LOAD_LU ; 4-byte Folded Reload
	s_wait_loadcnt 0x0
	ds_store_b128 v32, v[34:37]
	ds_store_b128 v32, v[38:41] offset:432
	ds_store_b128 v32, v[42:45] offset:864
	v_add_f64_e32 v[32:33], v[20:21], v[24:25]
	v_add_f64_e32 v[40:41], v[66:67], v[20:21]
	s_delay_alu instid0(VALU_DEP_2) | instskip(SKIP_1) | instid1(VALU_DEP_1)
	v_fma_f64 v[36:37], v[32:33], -0.5, v[66:67]
	v_add_f64_e32 v[32:33], v[22:23], v[28:29]
	v_fma_f64 v[38:39], v[32:33], -0.5, v[68:69]
	v_add_f64_e32 v[32:33], v[68:69], v[22:23]
	v_add_f64_e64 v[22:23], v[22:23], -v[28:29]
	s_delay_alu instid0(VALU_DEP_2) | instskip(SKIP_2) | instid1(VALU_DEP_4)
	v_add_f64_e32 v[34:35], v[32:33], v[28:29]
	v_add_f64_e32 v[32:33], v[40:41], v[24:25]
	v_add_f64_e64 v[24:25], v[20:21], -v[24:25]
	v_fma_f64 v[20:21], v[22:23], s[0:1], v[36:37]
	v_fma_f64 v[36:37], v[22:23], s[8:9], v[36:37]
	v_add_f64_e32 v[28:29], v[70:71], v[6:7]
	s_delay_alu instid0(VALU_DEP_4)
	v_fma_f64 v[22:23], v[24:25], s[8:9], v[38:39]
	v_fma_f64 v[38:39], v[24:25], s[0:1], v[38:39]
	scratch_load_b32 v24, off, off offset:1428 th:TH_LOAD_LU ; 4-byte Folded Reload
	s_wait_loadcnt 0x0
	ds_store_b128 v24, v[32:35]
	ds_store_b128 v24, v[20:23] offset:432
	ds_store_b128 v24, v[36:39] offset:864
	v_add_f64_e32 v[20:21], v[6:7], v[14:15]
	v_add_f64_e64 v[6:7], v[6:7], -v[14:15]
	v_add_f64_e64 v[32:33], v[12:13], -v[18:19]
	s_delay_alu instid0(VALU_DEP_3) | instskip(SKIP_1) | instid1(VALU_DEP_1)
	v_fma_f64 v[22:23], v[20:21], -0.5, v[70:71]
	v_add_f64_e32 v[20:21], v[12:13], v[18:19]
	v_fma_f64 v[24:25], v[20:21], -0.5, v[72:73]
	v_add_f64_e32 v[20:21], v[72:73], v[12:13]
	s_delay_alu instid0(VALU_DEP_4) | instskip(SKIP_1) | instid1(VALU_DEP_3)
	v_fma_f64 v[12:13], v[32:33], s[0:1], v[22:23]
	v_fma_f64 v[22:23], v[32:33], s[8:9], v[22:23]
	v_add_f64_e32 v[20:21], v[20:21], v[18:19]
	v_add_f64_e32 v[18:19], v[28:29], v[14:15]
	v_fma_f64 v[14:15], v[6:7], s[8:9], v[24:25]
	v_fma_f64 v[24:25], v[6:7], s[0:1], v[24:25]
	scratch_load_b32 v6, off, off offset:1388 th:TH_LOAD_LU ; 4-byte Folded Reload
	s_wait_loadcnt 0x0
	ds_store_b128 v6, v[18:21]
	ds_store_b128 v6, v[12:15] offset:432
	ds_store_b128 v6, v[22:25] offset:864
	v_add_f64_e32 v[12:13], v[2:3], v[16:17]
	v_add_f64_e32 v[6:7], v[0:1], v[8:9]
	;; [unrolled: 1-line block ×3, first 2 shown]
	s_delay_alu instid0(VALU_DEP_3) | instskip(SKIP_3) | instid1(VALU_DEP_3)
	v_fma_f64 v[18:19], v[12:13], -0.5, v[76:77]
	v_add_f64_e32 v[12:13], v[76:77], v[2:3]
	v_add_f64_e64 v[2:3], v[2:3], -v[16:17]
	v_fma_f64 v[6:7], v[6:7], -0.5, v[74:75]
	v_add_f64_e32 v[14:15], v[12:13], v[16:17]
	v_add_f64_e32 v[16:17], v[4:5], v[26:27]
	;; [unrolled: 1-line block ×3, first 2 shown]
	v_add_f64_e64 v[8:9], v[0:1], -v[8:9]
	v_add_f64_e32 v[20:21], v[46:47], v[4:5]
	v_add_f64_e64 v[4:5], v[4:5], -v[26:27]
	v_fma_f64 v[0:1], v[2:3], s[0:1], v[6:7]
	v_fma_f64 v[6:7], v[2:3], s[8:9], v[6:7]
	v_fma_f64 v[22:23], v[16:17], -0.5, v[46:47]
	v_add_f64_e32 v[16:17], v[10:11], v[30:31]
	v_fma_f64 v[2:3], v[8:9], s[8:9], v[18:19]
	v_fma_f64 v[8:9], v[8:9], s[0:1], v[18:19]
	s_delay_alu instid0(VALU_DEP_3) | instskip(SKIP_2) | instid1(VALU_DEP_2)
	v_fma_f64 v[28:29], v[16:17], -0.5, v[48:49]
	v_add_f64_e32 v[16:17], v[48:49], v[10:11]
	v_add_f64_e64 v[10:11], v[10:11], -v[30:31]
	v_add_f64_e32 v[18:19], v[16:17], v[30:31]
	v_add_f64_e32 v[16:17], v[20:21], v[26:27]
	s_delay_alu instid0(VALU_DEP_3)
	v_fma_f64 v[20:21], v[10:11], s[0:1], v[22:23]
	v_fma_f64 v[24:25], v[10:11], s[8:9], v[22:23]
	;; [unrolled: 1-line block ×4, first 2 shown]
	scratch_load_b32 v4, off, off offset:1284 th:TH_LOAD_LU ; 4-byte Folded Reload
	s_wait_loadcnt 0x0
	ds_store_b128 v4, v[12:15]
	ds_store_b128 v4, v[0:3] offset:432
	ds_store_b128 v4, v[6:9] offset:864
	scratch_load_b32 v0, off, off offset:1288 th:TH_LOAD_LU ; 4-byte Folded Reload
	s_wait_loadcnt 0x0
	ds_store_b128 v0, v[16:19]
	ds_store_b128 v0, v[20:23] offset:432
	ds_store_b128 v0, v[24:27] offset:864
	global_wb scope:SCOPE_SE
	s_wait_dscnt 0x0
	s_barrier_signal -1
	s_barrier_wait -1
	global_inv scope:SCOPE_SE
	ds_load_b128 v[0:3], v140 offset:9072
	ds_load_b128 v[4:7], v140 offset:18144
	s_clause 0x5
	scratch_load_b128 v[26:29], off, off offset:1108 th:TH_LOAD_LU
	scratch_load_b128 v[30:33], off, off offset:1180 th:TH_LOAD_LU
	;; [unrolled: 1-line block ×6, first 2 shown]
	ds_load_b128 v[8:11], v140 offset:10080
	ds_load_b128 v[12:15], v140 offset:19152
	s_clause 0x2
	scratch_load_b128 v[60:63], off, off offset:1536 th:TH_LOAD_LU
	scratch_load_b128 v[66:69], off, off offset:1668 th:TH_LOAD_LU
	;; [unrolled: 1-line block ×3, first 2 shown]
	s_wait_loadcnt_dscnt 0x803
	v_mul_f64_e32 v[16:17], v[28:29], v[2:3]
	v_mul_f64_e32 v[18:19], v[28:29], v[0:1]
	s_wait_loadcnt_dscnt 0x702
	v_mul_f64_e32 v[20:21], v[32:33], v[6:7]
	v_mul_f64_e32 v[22:23], v[32:33], v[4:5]
	s_delay_alu instid0(VALU_DEP_4) | instskip(NEXT) | instid1(VALU_DEP_4)
	v_fma_f64 v[16:17], v[26:27], v[0:1], v[16:17]
	v_fma_f64 v[18:19], v[26:27], v[2:3], -v[18:19]
	ds_load_b128 v[0:3], v140 offset:11088
	s_wait_loadcnt_dscnt 0x602
	v_mul_f64_e32 v[24:25], v[38:39], v[10:11]
	v_mul_f64_e32 v[26:27], v[38:39], v[8:9]
	v_fma_f64 v[20:21], v[30:31], v[4:5], v[20:21]
	v_fma_f64 v[22:23], v[30:31], v[6:7], -v[22:23]
	ds_load_b128 v[4:7], v140 offset:20160
	s_wait_loadcnt_dscnt 0x402
	v_mul_f64_e32 v[28:29], v[42:43], v[14:15]
	v_mul_f64_e32 v[30:31], v[42:43], v[12:13]
	s_wait_dscnt 0x1
	v_mul_f64_e32 v[32:33], v[46:47], v[2:3]
	v_fma_f64 v[34:35], v[36:37], v[8:9], v[24:25]
	v_fma_f64 v[36:37], v[36:37], v[10:11], -v[26:27]
	s_wait_loadcnt_dscnt 0x300
	v_mul_f64_e32 v[26:27], v[50:51], v[6:7]
	v_mul_f64_e32 v[24:25], v[46:47], v[0:1]
	ds_load_b128 v[8:11], v140 offset:12096
	v_fma_f64 v[38:39], v[40:41], v[12:13], v[28:29]
	v_fma_f64 v[28:29], v[40:41], v[14:15], -v[30:31]
	v_mul_f64_e32 v[30:31], v[50:51], v[4:5]
	scratch_load_b128 v[50:53], off, off offset:1372 th:TH_LOAD_LU ; 16-byte Folded Reload
	ds_load_b128 v[12:15], v140 offset:21168
	v_fma_f64 v[42:43], v[44:45], v[0:1], v[32:33]
	v_fma_f64 v[46:47], v[48:49], v[4:5], v[26:27]
	v_fma_f64 v[32:33], v[44:45], v[2:3], -v[24:25]
	ds_load_b128 v[0:3], v140 offset:13104
	s_wait_loadcnt_dscnt 0x101
	v_mul_f64_e32 v[44:45], v[56:57], v[14:15]
	v_mul_f64_e32 v[26:27], v[56:57], v[12:13]
	v_fma_f64 v[48:49], v[48:49], v[6:7], -v[30:31]
	ds_load_b128 v[4:7], v140 offset:22176
	s_wait_dscnt 0x1
	v_mul_f64_e32 v[30:31], v[62:63], v[2:3]
	v_fma_f64 v[44:45], v[54:55], v[12:13], v[44:45]
	v_fma_f64 v[54:55], v[54:55], v[14:15], -v[26:27]
	ds_load_b128 v[12:15], v140 offset:23184
	v_fma_f64 v[58:59], v[60:61], v[0:1], v[30:31]
	s_wait_loadcnt 0x0
	v_mul_f64_e32 v[40:41], v[52:53], v[10:11]
	v_mul_f64_e32 v[24:25], v[52:53], v[8:9]
	s_delay_alu instid0(VALU_DEP_2) | instskip(NEXT) | instid1(VALU_DEP_2)
	v_fma_f64 v[40:41], v[50:51], v[8:9], v[40:41]
	v_fma_f64 v[50:51], v[50:51], v[10:11], -v[24:25]
	v_mul_f64_e32 v[24:25], v[62:63], v[0:1]
	ds_load_b128 v[8:11], v140 offset:14112
	scratch_load_b128 v[62:65], off, off offset:1596 th:TH_LOAD_LU ; 16-byte Folded Reload
	v_fma_f64 v[60:61], v[60:61], v[2:3], -v[24:25]
	ds_load_b128 v[0:3], v140 offset:15120
	s_wait_dscnt 0x1
	v_mul_f64_e32 v[56:57], v[68:69], v[10:11]
	v_mul_f64_e32 v[24:25], v[68:69], v[8:9]
	scratch_load_b128 v[68:71], off, off offset:1512 th:TH_LOAD_LU ; 16-byte Folded Reload
	v_fma_f64 v[88:89], v[66:67], v[8:9], v[56:57]
	v_fma_f64 v[84:85], v[66:67], v[10:11], -v[24:25]
	ds_load_b128 v[8:11], v140 offset:16128
	s_wait_loadcnt 0x1
	v_mul_f64_e32 v[52:53], v[64:65], v[6:7]
	v_mul_f64_e32 v[26:27], v[64:65], v[4:5]
	s_delay_alu instid0(VALU_DEP_2) | instskip(NEXT) | instid1(VALU_DEP_2)
	v_fma_f64 v[52:53], v[62:63], v[4:5], v[52:53]
	v_fma_f64 v[62:63], v[62:63], v[6:7], -v[26:27]
	s_wait_loadcnt_dscnt 0x1
	v_mul_f64_e32 v[64:65], v[70:71], v[2:3]
	v_mul_f64_e32 v[24:25], v[70:71], v[0:1]
	scratch_load_b128 v[70:73], off, off offset:1580 th:TH_LOAD_LU ; 16-byte Folded Reload
	ds_load_b128 v[4:7], v140 offset:24192
	v_mul_f64_e32 v[26:27], v[158:159], v[12:13]
	v_mul_f64_e32 v[30:31], v[158:159], v[14:15]
	v_add_f64_e64 v[92:93], v[58:59], -v[52:53]
	v_add_f64_e64 v[80:81], v[60:61], -v[62:63]
	v_fma_f64 v[100:101], v[68:69], v[0:1], v[64:65]
	v_fma_f64 v[96:97], v[68:69], v[2:3], -v[24:25]
	v_add_f64_e32 v[64:65], v[34:35], v[38:39]
	v_fma_f64 v[86:87], v[156:157], v[14:15], -v[26:27]
	v_fma_f64 v[90:91], v[156:157], v[12:13], v[30:31]
	s_delay_alu instid0(VALU_DEP_1)
	v_add_f64_e32 v[94:95], v[88:89], v[90:91]
	s_wait_loadcnt_dscnt 0x0
	v_mul_f64_e32 v[56:57], v[72:73], v[6:7]
	v_mul_f64_e32 v[26:27], v[72:73], v[4:5]
	scratch_load_b128 v[72:75], off, off offset:1616 th:TH_LOAD_LU ; 16-byte Folded Reload
	ds_load_b128 v[0:3], v140 offset:25200
	ds_load_b128 v[12:15], v140 offset:17136
	v_fma_f64 v[102:103], v[70:71], v[4:5], v[56:57]
	v_fma_f64 v[98:99], v[70:71], v[6:7], -v[26:27]
	scratch_load_b128 v[68:71], off, off offset:1708 th:TH_LOAD_LU ; 16-byte Folded Reload
	ds_load_b128 v[4:7], v140 offset:26208
	s_wait_dscnt 0x1
	v_mul_f64_e32 v[56:57], v[166:167], v[14:15]
	s_delay_alu instid0(VALU_DEP_1)
	v_fma_f64 v[116:117], v[164:165], v[12:13], v[56:57]
	s_wait_loadcnt 0x1
	v_mul_f64_e32 v[30:31], v[74:75], v[10:11]
	v_mul_f64_e32 v[66:67], v[74:75], v[8:9]
	s_wait_loadcnt 0x0
	v_mul_f64_e32 v[24:25], v[70:71], v[2:3]
	v_mul_f64_e32 v[26:27], v[70:71], v[0:1]
	s_delay_alu instid0(VALU_DEP_4)
	v_fma_f64 v[108:109], v[72:73], v[8:9], v[30:31]
	v_mul_f64_e32 v[8:9], v[166:167], v[12:13]
	v_fma_f64 v[110:111], v[72:73], v[10:11], -v[66:67]
	v_add_f64_e32 v[66:67], v[36:37], v[28:29]
	v_add_f64_e32 v[12:13], v[42:43], v[46:47]
	v_fma_f64 v[112:113], v[68:69], v[0:1], v[24:25]
	v_fma_f64 v[114:115], v[68:69], v[2:3], -v[26:27]
	ds_load_b128 v[0:3], v140
	s_wait_dscnt 0x1
	v_mul_f64_e32 v[10:11], v[162:163], v[6:7]
	v_mul_f64_e32 v[30:31], v[162:163], v[4:5]
	v_add_f64_e32 v[26:27], v[18:19], v[22:23]
	v_add_f64_e32 v[24:25], v[16:17], v[20:21]
	v_fma_f64 v[118:119], v[164:165], v[14:15], -v[8:9]
	v_add_f64_e32 v[14:15], v[32:33], v[48:49]
	v_fma_f64 v[120:121], v[160:161], v[4:5], v[10:11]
	v_fma_f64 v[122:123], v[160:161], v[6:7], -v[30:31]
	ds_load_b128 v[4:7], v140 offset:1008
	ds_load_b128 v[8:11], v140 offset:2016
	s_wait_dscnt 0x2
	v_fma_f64 v[68:69], v[26:27], -0.5, v[2:3]
	v_add_f64_e32 v[26:27], v[50:51], v[54:55]
	v_add_f64_e32 v[30:31], v[0:1], v[16:17]
	v_fma_f64 v[56:57], v[24:25], -0.5, v[0:1]
	v_add_f64_e32 v[24:25], v[2:3], v[18:19]
	ds_load_b128 v[0:3], v140 offset:3024
	v_add_f64_e64 v[18:19], v[18:19], -v[22:23]
	v_add_f64_e64 v[16:17], v[16:17], -v[20:21]
	s_wait_dscnt 0x2
	v_add_f64_e32 v[70:71], v[4:5], v[34:35]
	v_fma_f64 v[4:5], v[64:65], -0.5, v[4:5]
	v_fma_f64 v[64:65], v[66:67], -0.5, v[6:7]
	s_wait_dscnt 0x1
	v_add_f64_e32 v[66:67], v[8:9], v[42:43]
	v_fma_f64 v[8:9], v[12:13], -0.5, v[8:9]
	v_fma_f64 v[12:13], v[14:15], -0.5, v[10:11]
	v_add_f64_e32 v[14:15], v[40:41], v[44:45]
	s_wait_dscnt 0x0
	v_add_f64_e32 v[72:73], v[0:1], v[40:41]
	v_add_f64_e32 v[76:77], v[2:3], v[50:51]
	;; [unrolled: 1-line block ×4, first 2 shown]
	v_fma_f64 v[74:75], v[26:27], -0.5, v[2:3]
	v_add_f64_e32 v[26:27], v[58:59], v[52:53]
	v_fma_f64 v[14:15], v[14:15], -0.5, v[0:1]
	ds_load_b128 v[0:3], v140 offset:4032
	s_wait_dscnt 0x0
	v_fma_f64 v[78:79], v[26:27], -0.5, v[0:1]
	v_add_f64_e32 v[26:27], v[60:61], v[62:63]
	v_add_f64_e32 v[0:1], v[0:1], v[58:59]
	s_delay_alu instid0(VALU_DEP_2)
	v_fma_f64 v[82:83], v[26:27], -0.5, v[2:3]
	v_add_f64_e32 v[2:3], v[2:3], v[60:61]
	v_add_f64_e32 v[26:27], v[24:25], v[22:23]
	;; [unrolled: 1-line block ×3, first 2 shown]
	v_add_f64_e64 v[20:21], v[36:37], -v[28:29]
	v_add_f64_e32 v[30:31], v[6:7], v[28:29]
	v_add_f64_e64 v[6:7], v[34:35], -v[38:39]
	v_add_f64_e32 v[28:29], v[70:71], v[38:39]
	v_add_f64_e32 v[34:35], v[10:11], v[48:49]
	v_add_f64_e64 v[10:11], v[42:43], -v[46:47]
	v_add_f64_e32 v[38:39], v[76:77], v[54:55]
	v_add_f64_e64 v[76:77], v[40:41], -v[44:45]
	;; [unrolled: 2-line block ×3, first 2 shown]
	v_add_f64_e64 v[70:71], v[50:51], -v[54:55]
	v_add_f64_e32 v[36:37], v[72:73], v[44:45]
	v_fma_f64 v[44:45], v[18:19], s[0:1], v[56:57]
	v_fma_f64 v[48:49], v[18:19], s[8:9], v[56:57]
	v_add_f64_e32 v[32:33], v[66:67], v[46:47]
	v_fma_f64 v[46:47], v[16:17], s[8:9], v[68:69]
	v_fma_f64 v[50:51], v[16:17], s[0:1], v[68:69]
	v_add_f64_e32 v[16:17], v[116:117], v[120:121]
	v_add_f64_e32 v[42:43], v[2:3], v[62:63]
	ds_load_b128 v[0:3], v140 offset:5040
	v_fma_f64 v[52:53], v[20:21], s[0:1], v[4:5]
	v_fma_f64 v[56:57], v[20:21], s[8:9], v[4:5]
	;; [unrolled: 1-line block ×4, first 2 shown]
	v_add_f64_e32 v[6:7], v[84:85], v[86:87]
	v_fma_f64 v[62:63], v[10:11], s[8:9], v[12:13]
	v_fma_f64 v[66:67], v[10:11], s[0:1], v[12:13]
	v_add_f64_e64 v[12:13], v[108:109], -v[112:113]
	v_add_f64_e64 v[20:21], v[118:119], -v[122:123]
	v_fma_f64 v[60:61], v[22:23], s[0:1], v[8:9]
	v_fma_f64 v[64:65], v[22:23], s[8:9], v[8:9]
	v_add_f64_e64 v[8:9], v[84:85], -v[86:87]
	v_fma_f64 v[68:69], v[70:71], s[0:1], v[14:15]
	v_fma_f64 v[72:73], v[70:71], s[8:9], v[14:15]
	v_fma_f64 v[70:71], v[76:77], s[8:9], v[74:75]
	v_fma_f64 v[74:75], v[76:77], s[0:1], v[74:75]
	v_fma_f64 v[76:77], v[80:81], s[0:1], v[78:79]
	v_fma_f64 v[80:81], v[80:81], s[8:9], v[78:79]
	s_wait_dscnt 0x0
	v_fma_f64 v[4:5], v[94:95], -0.5, v[0:1]
	v_add_f64_e32 v[0:1], v[0:1], v[88:89]
	v_fma_f64 v[78:79], v[92:93], s[8:9], v[82:83]
	v_fma_f64 v[82:83], v[92:93], s[0:1], v[82:83]
	v_fma_f64 v[6:7], v[6:7], -0.5, v[2:3]
	v_add_f64_e32 v[2:3], v[2:3], v[84:85]
	v_fma_f64 v[92:93], v[8:9], s[8:9], v[4:5]
	v_add_f64_e32 v[84:85], v[0:1], v[90:91]
	v_add_f64_e64 v[0:1], v[88:89], -v[90:91]
	v_fma_f64 v[88:89], v[8:9], s[0:1], v[4:5]
	v_add_f64_e32 v[4:5], v[100:101], v[102:103]
	v_add_f64_e64 v[8:9], v[96:97], -v[98:99]
	v_add_f64_e32 v[86:87], v[2:3], v[86:87]
	v_fma_f64 v[90:91], v[0:1], s[8:9], v[6:7]
	v_fma_f64 v[94:95], v[0:1], s[0:1], v[6:7]
	ds_load_b128 v[0:3], v140 offset:6048
	v_add_f64_e32 v[6:7], v[96:97], v[98:99]
	s_wait_dscnt 0x0
	v_fma_f64 v[4:5], v[4:5], -0.5, v[0:1]
	v_add_f64_e32 v[0:1], v[0:1], v[100:101]
	s_delay_alu instid0(VALU_DEP_3) | instskip(SKIP_1) | instid1(VALU_DEP_4)
	v_fma_f64 v[6:7], v[6:7], -0.5, v[2:3]
	v_add_f64_e32 v[2:3], v[2:3], v[96:97]
	v_fma_f64 v[104:105], v[8:9], s[8:9], v[4:5]
	s_delay_alu instid0(VALU_DEP_4)
	v_add_f64_e32 v[96:97], v[0:1], v[102:103]
	v_add_f64_e64 v[0:1], v[100:101], -v[102:103]
	v_fma_f64 v[100:101], v[8:9], s[0:1], v[4:5]
	v_add_f64_e32 v[4:5], v[108:109], v[112:113]
	v_add_f64_e64 v[8:9], v[110:111], -v[114:115]
	v_add_f64_e32 v[98:99], v[2:3], v[98:99]
	v_fma_f64 v[102:103], v[0:1], s[8:9], v[6:7]
	v_fma_f64 v[106:107], v[0:1], s[0:1], v[6:7]
	ds_load_b128 v[0:3], v140 offset:7056
	s_wait_dscnt 0x0
	v_fma_f64 v[6:7], v[4:5], -0.5, v[0:1]
	v_add_f64_e32 v[4:5], v[110:111], v[114:115]
	v_add_f64_e32 v[0:1], v[0:1], v[108:109]
	v_add_f64_e64 v[108:109], v[116:117], -v[120:121]
	s_delay_alu instid0(VALU_DEP_3)
	v_fma_f64 v[10:11], v[4:5], -0.5, v[2:3]
	v_fma_f64 v[4:5], v[8:9], s[0:1], v[6:7]
	v_fma_f64 v[8:9], v[8:9], s[8:9], v[6:7]
	v_add_f64_e32 v[2:3], v[2:3], v[110:111]
	v_add_f64_e32 v[0:1], v[0:1], v[112:113]
	v_fma_f64 v[6:7], v[12:13], s[8:9], v[10:11]
	v_fma_f64 v[10:11], v[12:13], s[0:1], v[10:11]
	ds_load_b128 v[12:15], v140 offset:8064
	global_wb scope:SCOPE_SE
	s_wait_dscnt 0x0
	s_barrier_signal -1
	s_barrier_wait -1
	global_inv scope:SCOPE_SE
	ds_store_b128 v140, v[24:27]
	ds_store_b128 v140, v[44:47] offset:1296
	ds_store_b128 v140, v[48:51] offset:2592
	scratch_load_b32 v24, off, off offset:1448 th:TH_LOAD_LU ; 4-byte Folded Reload
	s_wait_loadcnt 0x0
	ds_store_b128 v24, v[28:31]
	ds_store_b128 v24, v[52:55] offset:1296
	ds_store_b128 v24, v[56:59] offset:2592
	scratch_load_b32 v24, off, off offset:1468 th:TH_LOAD_LU ; 4-byte Folded Reload
	s_wait_loadcnt 0x0
	;; [unrolled: 5-line block ×4, first 2 shown]
	ds_store_b128 v24, v[40:43] offset:11664
	ds_store_b128 v24, v[76:79] offset:12960
	;; [unrolled: 1-line block ×3, first 2 shown]
	scratch_load_b32 v24, off, off offset:1532 th:TH_LOAD_LU ; 4-byte Folded Reload
	s_wait_loadcnt 0x0
	ds_store_b128 v24, v[84:87]
	ds_store_b128 v24, v[88:91] offset:1296
	ds_store_b128 v24, v[92:95] offset:2592
	scratch_load_b32 v24, off, off offset:1552 th:TH_LOAD_LU ; 4-byte Folded Reload
	s_wait_loadcnt 0x0
	ds_store_b128 v24, v[96:99]
	ds_store_b128 v24, v[100:103] offset:1296
	ds_store_b128 v24, v[104:107] offset:2592
	scratch_load_b32 v24, off, off offset:1748 th:TH_LOAD_LU ; 4-byte Folded Reload
	v_add_f64_e32 v[2:3], v[2:3], v[114:115]
	s_wait_loadcnt 0x0
	ds_store_b128 v24, v[0:3]
	ds_store_b128 v24, v[4:7] offset:1296
	ds_store_b128 v24, v[8:11] offset:2592
	scratch_load_b32 v24, off, off offset:1744 th:TH_LOAD_LU ; 4-byte Folded Reload
	v_fma_f64 v[18:19], v[16:17], -0.5, v[12:13]
	v_add_f64_e32 v[16:17], v[118:119], v[122:123]
	v_add_f64_e32 v[12:13], v[12:13], v[116:117]
	s_delay_alu instid0(VALU_DEP_2) | instskip(SKIP_1) | instid1(VALU_DEP_3)
	v_fma_f64 v[22:23], v[16:17], -0.5, v[14:15]
	v_add_f64_e32 v[14:15], v[14:15], v[118:119]
	v_add_f64_e32 v[12:13], v[12:13], v[120:121]
	v_fma_f64 v[16:17], v[20:21], s[0:1], v[18:19]
	v_fma_f64 v[20:21], v[20:21], s[8:9], v[18:19]
	;; [unrolled: 1-line block ×3, first 2 shown]
	v_add_f64_e32 v[14:15], v[14:15], v[122:123]
	v_fma_f64 v[22:23], v[108:109], s[0:1], v[22:23]
	s_wait_loadcnt 0x0
	ds_store_b128 v24, v[12:15] offset:23328
	ds_store_b128 v24, v[16:19] offset:24624
	;; [unrolled: 1-line block ×3, first 2 shown]
	global_wb scope:SCOPE_SE
	s_wait_dscnt 0x0
	s_barrier_signal -1
	s_barrier_wait -1
	global_inv scope:SCOPE_SE
	ds_load_b128 v[28:31], v140
	ds_load_b128 v[32:35], v140 offset:1008
	ds_load_b128 v[100:103], v140 offset:7776
	;; [unrolled: 1-line block ×20, first 2 shown]
	s_and_saveexec_b32 s0, vcc_lo
	s_cbranch_execz .LBB0_7
; %bb.6:
	ds_load_b128 v[0:3], v140 offset:3024
	ds_load_b128 v[4:7], v140 offset:6912
	;; [unrolled: 1-line block ×7, first 2 shown]
	s_wait_dscnt 0x0
	scratch_store_b128 off, v[96:99], off   ; 16-byte Folded Spill
.LBB0_7:
	s_wait_alu 0xfffe
	s_or_b32 exec_lo, exec_lo, s0
	scratch_load_b128 v[112:115], off, off offset:1452 th:TH_LOAD_LU ; 16-byte Folded Reload
	s_wait_dscnt 0x3
	v_mul_f64_e32 v[116:117], v[170:171], v[38:39]
	v_mul_f64_e32 v[118:119], v[170:171], v[36:37]
	s_mov_b32 s8, 0x37e14327
	s_mov_b32 s0, 0x36b3c0b5
	;; [unrolled: 1-line block ×13, first 2 shown]
	s_wait_alu 0xfffe
	s_mov_b32 s20, s18
	s_mov_b32 s24, 0xaaaaaaaa
	;; [unrolled: 1-line block ×5, first 2 shown]
	s_delay_alu instid0(VALU_DEP_2) | instskip(NEXT) | instid1(VALU_DEP_2)
	v_fma_f64 v[36:37], v[168:169], v[36:37], v[116:117]
	v_fma_f64 v[38:39], v[168:169], v[38:39], -v[118:119]
	s_wait_loadcnt 0x0
	v_mul_f64_e32 v[96:97], v[114:115], v[106:107]
	v_mul_f64_e32 v[98:99], v[114:115], v[104:105]
	;; [unrolled: 1-line block ×3, first 2 shown]
	s_delay_alu instid0(VALU_DEP_3) | instskip(SKIP_1) | instid1(VALU_DEP_4)
	v_fma_f64 v[96:97], v[112:113], v[104:105], v[96:97]
	v_mul_f64_e32 v[104:105], v[178:179], v[102:103]
	v_fma_f64 v[98:99], v[112:113], v[106:107], -v[98:99]
	v_mul_f64_e32 v[106:107], v[182:183], v[108:109]
	v_mul_f64_e32 v[112:113], v[226:227], v[46:47]
	v_fma_f64 v[46:47], v[224:225], v[46:47], -v[114:115]
	v_fma_f64 v[104:105], v[176:177], v[100:101], v[104:105]
	v_mul_f64_e32 v[100:101], v[178:179], v[100:101]
	v_fma_f64 v[106:107], v[180:181], v[110:111], -v[106:107]
	v_fma_f64 v[44:45], v[224:225], v[44:45], v[112:113]
	s_delay_alu instid0(VALU_DEP_3) | instskip(SKIP_2) | instid1(VALU_DEP_3)
	v_fma_f64 v[100:101], v[176:177], v[102:103], -v[100:101]
	v_mul_f64_e32 v[102:103], v[182:183], v[110:111]
	v_mul_f64_e32 v[110:111], v[234:235], v[52:53]
	v_add_f64_e32 v[114:115], v[100:101], v[106:107]
	s_delay_alu instid0(VALU_DEP_3) | instskip(SKIP_2) | instid1(VALU_DEP_3)
	v_fma_f64 v[102:103], v[180:181], v[108:109], v[102:103]
	v_mul_f64_e32 v[108:109], v[186:187], v[90:91]
	v_add_f64_e64 v[100:101], v[100:101], -v[106:107]
	v_add_f64_e32 v[112:113], v[104:105], v[102:103]
	s_delay_alu instid0(VALU_DEP_3) | instskip(SKIP_2) | instid1(VALU_DEP_2)
	v_fma_f64 v[108:109], v[184:185], v[88:89], v[108:109]
	v_mul_f64_e32 v[88:89], v[186:187], v[88:89]
	v_add_f64_e64 v[102:103], v[104:105], -v[102:103]
	v_fma_f64 v[88:89], v[184:185], v[90:91], -v[88:89]
	v_mul_f64_e32 v[90:91], v[190:191], v[94:95]
	s_delay_alu instid0(VALU_DEP_1) | instskip(SKIP_1) | instid1(VALU_DEP_1)
	v_fma_f64 v[90:91], v[188:189], v[92:93], v[90:91]
	v_mul_f64_e32 v[92:93], v[190:191], v[92:93]
	v_fma_f64 v[92:93], v[188:189], v[94:95], -v[92:93]
	v_mul_f64_e32 v[94:95], v[198:199], v[78:79]
	s_delay_alu instid0(VALU_DEP_1) | instskip(SKIP_1) | instid1(VALU_DEP_1)
	v_fma_f64 v[94:95], v[196:197], v[76:77], v[94:95]
	v_mul_f64_e32 v[76:77], v[198:199], v[76:77]
	v_fma_f64 v[76:77], v[196:197], v[78:79], -v[76:77]
	v_mul_f64_e32 v[78:79], v[202:203], v[82:83]
	s_delay_alu instid0(VALU_DEP_1) | instskip(SKIP_1) | instid1(VALU_DEP_2)
	v_fma_f64 v[78:79], v[200:201], v[80:81], v[78:79]
	v_mul_f64_e32 v[80:81], v[202:203], v[80:81]
	v_add_f64_e32 v[116:117], v[90:91], v[78:79]
	s_delay_alu instid0(VALU_DEP_2) | instskip(SKIP_2) | instid1(VALU_DEP_2)
	v_fma_f64 v[80:81], v[200:201], v[82:83], -v[80:81]
	s_wait_dscnt 0x2
	v_mul_f64_e32 v[82:83], v[194:195], v[86:87]
	v_add_f64_e32 v[120:121], v[92:93], v[80:81]
	s_delay_alu instid0(VALU_DEP_2) | instskip(SKIP_1) | instid1(VALU_DEP_2)
	v_fma_f64 v[82:83], v[192:193], v[84:85], v[82:83]
	v_mul_f64_e32 v[84:85], v[194:195], v[84:85]
	v_add_f64_e32 v[118:119], v[94:95], v[82:83]
	s_delay_alu instid0(VALU_DEP_2) | instskip(SKIP_2) | instid1(VALU_DEP_3)
	v_fma_f64 v[84:85], v[192:193], v[86:87], -v[84:85]
	v_mul_f64_e32 v[86:87], v[206:207], v[70:71]
	v_add_f64_e64 v[82:83], v[94:95], -v[82:83]
	v_add_f64_e32 v[122:123], v[76:77], v[84:85]
	s_delay_alu instid0(VALU_DEP_3) | instskip(SKIP_2) | instid1(VALU_DEP_4)
	v_fma_f64 v[86:87], v[204:205], v[68:69], v[86:87]
	v_mul_f64_e32 v[68:69], v[206:207], v[68:69]
	v_add_f64_e64 v[76:77], v[76:77], -v[84:85]
	v_add_f64_e32 v[94:95], v[122:123], v[120:121]
	s_delay_alu instid0(VALU_DEP_3) | instskip(SKIP_1) | instid1(VALU_DEP_1)
	v_fma_f64 v[68:69], v[204:205], v[70:71], -v[68:69]
	v_mul_f64_e32 v[70:71], v[214:215], v[66:67]
	v_fma_f64 v[70:71], v[212:213], v[64:65], v[70:71]
	v_mul_f64_e32 v[64:65], v[214:215], v[64:65]
	s_delay_alu instid0(VALU_DEP_1) | instskip(SKIP_2) | instid1(VALU_DEP_1)
	v_fma_f64 v[64:65], v[212:213], v[66:67], -v[64:65]
	s_wait_dscnt 0x0
	v_mul_f64_e32 v[66:67], v[222:223], v[74:75]
	v_fma_f64 v[66:67], v[220:221], v[72:73], v[66:67]
	v_mul_f64_e32 v[72:73], v[222:223], v[72:73]
	s_delay_alu instid0(VALU_DEP_2) | instskip(NEXT) | instid1(VALU_DEP_2)
	v_add_f64_e32 v[124:125], v[86:87], v[66:67]
	v_fma_f64 v[72:73], v[220:221], v[74:75], -v[72:73]
	v_mul_f64_e32 v[74:75], v[210:211], v[62:63]
	v_add_f64_e64 v[66:67], v[86:87], -v[66:67]
	s_delay_alu instid0(VALU_DEP_3) | instskip(NEXT) | instid1(VALU_DEP_3)
	v_add_f64_e32 v[126:127], v[68:69], v[72:73]
	v_fma_f64 v[74:75], v[208:209], v[60:61], v[74:75]
	v_mul_f64_e32 v[60:61], v[210:211], v[60:61]
	v_add_f64_e64 v[68:69], v[68:69], -v[72:73]
	s_delay_alu instid0(VALU_DEP_3) | instskip(NEXT) | instid1(VALU_DEP_3)
	v_add_f64_e32 v[128:129], v[70:71], v[74:75]
	v_fma_f64 v[60:61], v[208:209], v[62:63], -v[60:61]
	v_mul_f64_e32 v[62:63], v[218:219], v[58:59]
	v_add_f64_e64 v[70:71], v[70:71], -v[74:75]
	s_delay_alu instid0(VALU_DEP_3) | instskip(NEXT) | instid1(VALU_DEP_3)
	v_add_f64_e32 v[130:131], v[64:65], v[60:61]
	v_fma_f64 v[62:63], v[216:217], v[56:57], v[62:63]
	v_mul_f64_e32 v[56:57], v[218:219], v[56:57]
	v_add_f64_e64 v[60:61], v[64:65], -v[60:61]
	s_delay_alu instid0(VALU_DEP_2) | instskip(SKIP_3) | instid1(VALU_DEP_3)
	v_fma_f64 v[56:57], v[216:217], v[58:59], -v[56:57]
	v_mul_f64_e32 v[58:59], v[234:235], v[54:55]
	v_fma_f64 v[54:55], v[232:233], v[54:55], -v[110:111]
	v_mul_f64_e32 v[110:111], v[230:231], v[48:49]
	v_fma_f64 v[52:53], v[232:233], v[52:53], v[58:59]
	v_mul_f64_e32 v[58:59], v[230:231], v[50:51]
	s_delay_alu instid0(VALU_DEP_3)
	v_fma_f64 v[50:51], v[228:229], v[50:51], -v[110:111]
	v_mul_f64_e32 v[110:111], v[174:175], v[40:41]
	v_add_f64_e32 v[106:107], v[56:57], v[54:55]
	v_add_f64_e64 v[54:55], v[54:55], -v[56:57]
	v_add_f64_e64 v[56:57], v[96:97], -v[108:109]
	v_add_f64_e32 v[104:105], v[62:63], v[52:53]
	v_fma_f64 v[48:49], v[228:229], v[48:49], v[58:59]
	v_mul_f64_e32 v[58:59], v[174:175], v[42:43]
	v_fma_f64 v[42:43], v[172:173], v[42:43], -v[110:111]
	v_add_f64_e32 v[110:111], v[98:99], v[88:89]
	v_add_f64_e64 v[52:53], v[52:53], -v[62:63]
	v_add_f64_e64 v[62:63], v[98:99], -v[88:89]
	v_add_f64_e32 v[98:99], v[128:129], v[124:125]
	v_add_f64_e64 v[64:65], v[106:107], -v[114:115]
	v_add_f64_e32 v[74:75], v[54:55], v[100:101]
	v_add_f64_e32 v[88:89], v[48:49], v[44:45]
	v_fma_f64 v[40:41], v[172:173], v[40:41], v[58:59]
	v_add_f64_e32 v[58:59], v[96:97], v[108:109]
	v_add_f64_e32 v[96:97], v[50:51], v[46:47]
	v_add_f64_e64 v[44:45], v[44:45], -v[48:49]
	v_add_f64_e64 v[46:47], v[46:47], -v[50:51]
	;; [unrolled: 1-line block ×4, first 2 shown]
	v_add_f64_e32 v[80:81], v[42:43], v[38:39]
	v_add_f64_e32 v[90:91], v[114:115], v[110:111]
	;; [unrolled: 1-line block ×4, first 2 shown]
	v_add_f64_e64 v[38:39], v[38:39], -v[42:43]
	v_add_f64_e64 v[42:43], v[114:115], -v[110:111]
	v_add_f64_e32 v[72:73], v[52:53], v[102:103]
	v_add_f64_e64 v[114:115], v[116:117], -v[88:89]
	v_add_f64_e32 v[78:79], v[40:41], v[36:37]
	v_add_f64_e32 v[84:85], v[112:113], v[58:59]
	v_add_f64_e64 v[86:87], v[58:59], -v[104:105]
	v_add_f64_e32 v[94:95], v[96:97], v[94:95]
	v_add_f64_e64 v[36:37], v[36:37], -v[40:41]
	v_add_f64_e64 v[40:41], v[112:113], -v[58:59]
	;; [unrolled: 1-line block ×4, first 2 shown]
	v_add_f64_e32 v[90:91], v[106:107], v[90:91]
	v_add_f64_e32 v[92:93], v[88:89], v[92:93]
	;; [unrolled: 1-line block ×3, first 2 shown]
	v_add_f64_e64 v[106:107], v[52:53], -v[102:103]
	v_add_f64_e64 v[116:117], v[120:121], -v[96:97]
	;; [unrolled: 1-line block ×4, first 2 shown]
	v_add_f64_e32 v[118:119], v[44:45], v[82:83]
	v_add_f64_e64 v[102:103], v[102:103], -v[56:57]
	v_add_f64_e64 v[52:53], v[56:57], -v[52:53]
	v_add_f64_e32 v[56:57], v[72:73], v[56:57]
	v_add_f64_e64 v[72:73], v[54:55], -v[100:101]
	v_add_f64_e64 v[54:55], v[62:63], -v[54:55]
	;; [unrolled: 1-line block ×3, first 2 shown]
	v_add_f64_e32 v[62:63], v[74:75], v[62:63]
	v_add_f64_e64 v[74:75], v[44:45], -v[82:83]
	v_add_f64_e64 v[44:45], v[48:49], -v[44:45]
	;; [unrolled: 1-line block ×4, first 2 shown]
	v_mul_f64_e32 v[114:115], s[8:9], v[114:115]
	v_add_f64_e32 v[98:99], v[78:79], v[98:99]
	v_add_f64_e32 v[84:85], v[104:105], v[84:85]
	v_add_f64_e64 v[104:105], v[104:105], -v[112:113]
	v_add_f64_e64 v[112:113], v[122:123], -v[120:121]
	v_add_f64_e32 v[120:121], v[46:47], v[76:77]
	v_add_f64_e64 v[122:123], v[128:129], -v[124:125]
	v_add_f64_e64 v[124:125], v[124:125], -v[78:79]
	;; [unrolled: 1-line block ×6, first 2 shown]
	v_mul_f64_e32 v[86:87], s[8:9], v[86:87]
	v_mul_f64_e32 v[58:59], s[8:9], v[58:59]
	;; [unrolled: 1-line block ×4, first 2 shown]
	v_add_f64_e32 v[48:49], v[118:119], v[48:49]
	v_add_f64_e64 v[118:119], v[46:47], -v[76:77]
	v_add_f64_e64 v[46:47], v[50:51], -v[46:47]
	;; [unrolled: 1-line block ×3, first 2 shown]
	v_mul_f64_e32 v[72:73], s[16:17], v[72:73]
	v_add_f64_e32 v[30:31], v[30:31], v[90:91]
	v_add_f64_e32 v[32:33], v[32:33], v[92:93]
	;; [unrolled: 1-line block ×3, first 2 shown]
	v_mul_f64_e32 v[74:75], s[16:17], v[74:75]
	v_add_f64_e32 v[26:27], v[26:27], v[108:109]
	v_add_f64_e32 v[24:25], v[24:25], v[98:99]
	;; [unrolled: 1-line block ×3, first 2 shown]
	v_mul_f64_e32 v[130:131], s[0:1], v[104:105]
	v_add_f64_e32 v[50:51], v[120:121], v[50:51]
	v_mul_f64_e32 v[120:121], s[0:1], v[64:65]
	v_mul_f64_e32 v[124:125], s[8:9], v[124:125]
	v_fma_f64 v[104:105], v[104:105], s[0:1], v[86:87]
	v_fma_f64 v[64:65], v[64:65], s[0:1], v[58:59]
	v_mul_f64_e32 v[118:119], s[16:17], v[118:119]
	s_wait_alu 0xfffe
	v_fma_f64 v[90:91], v[90:91], s[24:25], v[30:31]
	v_fma_f64 v[92:93], v[92:93], s[24:25], v[32:33]
	v_fma_f64 v[94:95], v[94:95], s[24:25], v[34:35]
	v_fma_f64 v[108:109], v[108:109], s[24:25], v[26:27]
	v_fma_f64 v[98:99], v[98:99], s[24:25], v[24:25]
	v_fma_f64 v[84:85], v[84:85], s[24:25], v[28:29]
	v_fma_f64 v[130:131], v[40:41], s[10:11], -v[130:131]
	v_fma_f64 v[40:41], v[40:41], s[14:15], -v[86:87]
	v_mul_f64_e32 v[86:87], s[12:13], v[102:103]
	v_fma_f64 v[120:121], v[42:43], s[10:11], -v[120:121]
	v_fma_f64 v[42:43], v[42:43], s[14:15], -v[58:59]
	v_mul_f64_e32 v[58:59], s[12:13], v[100:101]
	v_fma_f64 v[102:103], v[102:103], s[12:13], -v[106:107]
	v_fma_f64 v[106:107], v[52:53], s[18:19], v[106:107]
	v_fma_f64 v[100:101], v[100:101], s[12:13], -v[72:73]
	v_fma_f64 v[72:73], v[54:55], s[18:19], v[72:73]
	v_add_f64_e32 v[64:65], v[64:65], v[90:91]
	v_fma_f64 v[52:53], v[52:53], s[20:21], -v[86:87]
	v_mul_f64_e32 v[86:87], s[0:1], v[88:89]
	v_fma_f64 v[88:89], v[88:89], s[0:1], v[114:115]
	v_fma_f64 v[54:55], v[54:55], s[20:21], -v[58:59]
	v_mul_f64_e32 v[58:59], s[12:13], v[82:83]
	v_fma_f64 v[82:83], v[82:83], s[12:13], -v[74:75]
	v_fma_f64 v[74:75], v[44:45], s[18:19], v[74:75]
	v_fma_f64 v[106:107], v[56:57], s[22:23], v[106:107]
	;; [unrolled: 1-line block ×6, first 2 shown]
	v_fma_f64 v[86:87], v[110:111], s[10:11], -v[86:87]
	v_fma_f64 v[110:111], v[110:111], s[14:15], -v[114:115]
	v_mul_f64_e32 v[114:115], s[12:13], v[76:77]
	v_fma_f64 v[44:45], v[44:45], s[20:21], -v[58:59]
	v_mul_f64_e32 v[58:59], s[0:1], v[96:97]
	v_fma_f64 v[76:77], v[76:77], s[12:13], -v[118:119]
	v_fma_f64 v[118:119], v[46:47], s[18:19], v[118:119]
	v_fma_f64 v[96:97], v[96:97], s[0:1], v[116:117]
	;; [unrolled: 1-line block ×3, first 2 shown]
	v_add_f64_e32 v[62:63], v[104:105], v[84:85]
	v_add_f64_e32 v[54:55], v[40:41], v[84:85]
	;; [unrolled: 1-line block ×4, first 2 shown]
	v_fma_f64 v[120:121], v[48:49], s[22:23], v[74:75]
	v_fma_f64 v[74:75], v[48:49], s[22:23], v[82:83]
	v_add_f64_e32 v[84:85], v[130:131], v[84:85]
	v_add_f64_e32 v[88:89], v[88:89], v[92:93]
	;; [unrolled: 1-line block ×4, first 2 shown]
	v_fma_f64 v[46:47], v[46:47], s[20:21], -v[114:115]
	v_add_f64_e32 v[114:115], v[36:37], v[70:71]
	v_fma_f64 v[58:59], v[112:113], s[10:11], -v[58:59]
	v_fma_f64 v[112:113], v[112:113], s[14:15], -v[116:117]
	v_add_f64_e64 v[116:117], v[36:37], -v[70:71]
	v_add_f64_e64 v[70:71], v[70:71], -v[66:67]
	;; [unrolled: 1-line block ×3, first 2 shown]
	v_fma_f64 v[76:77], v[50:51], s[22:23], v[76:77]
	v_fma_f64 v[118:119], v[50:51], s[22:23], v[118:119]
	v_add_f64_e32 v[96:97], v[96:97], v[94:95]
	v_add_f64_e32 v[40:41], v[52:53], v[54:55]
	v_add_f64_e64 v[42:43], v[104:105], -v[56:57]
	v_add_f64_e64 v[52:53], v[54:55], -v[52:53]
	v_add_f64_e32 v[54:55], v[56:57], v[104:105]
	v_add_f64_e64 v[56:57], v[62:63], -v[72:73]
	v_fma_f64 v[82:83], v[50:51], s[22:23], v[46:47]
	v_add_f64_e32 v[66:67], v[114:115], v[66:67]
	v_add_f64_e32 v[114:115], v[38:39], v[60:61]
	v_add_f64_e64 v[60:61], v[60:61], -v[68:69]
	v_add_f64_e64 v[38:39], v[68:69], -v[38:39]
	v_add_f64_e32 v[112:113], v[112:113], v[94:95]
	v_add_f64_e32 v[92:93], v[58:59], v[94:95]
	;; [unrolled: 1-line block ×3, first 2 shown]
	v_add_f64_e64 v[50:51], v[90:91], -v[102:103]
	v_add_f64_e32 v[46:47], v[102:103], v[90:91]
	v_add_f64_e32 v[68:69], v[114:115], v[68:69]
	v_mul_f64_e32 v[114:115], s[16:17], v[116:117]
	v_mul_f64_e32 v[116:117], s[12:13], v[70:71]
	s_delay_alu instid0(VALU_DEP_2) | instskip(SKIP_1) | instid1(VALU_DEP_3)
	v_fma_f64 v[70:71], v[70:71], s[12:13], -v[114:115]
	v_fma_f64 v[114:115], v[36:37], s[18:19], v[114:115]
	v_fma_f64 v[36:37], v[36:37], s[20:21], -v[116:117]
	v_mul_f64_e32 v[116:117], s[16:17], v[132:133]
	v_mul_f64_e32 v[132:133], s[12:13], v[60:61]
	v_fma_f64 v[130:131], v[66:67], s[22:23], v[70:71]
	v_fma_f64 v[114:115], v[66:67], s[22:23], v[114:115]
	;; [unrolled: 1-line block ×3, first 2 shown]
	v_fma_f64 v[60:61], v[60:61], s[12:13], -v[116:117]
	v_fma_f64 v[116:117], v[38:39], s[18:19], v[116:117]
	v_fma_f64 v[38:39], v[38:39], s[20:21], -v[132:133]
	v_mul_f64_e32 v[132:133], s[0:1], v[78:79]
	v_fma_f64 v[78:79], v[78:79], s[0:1], v[124:125]
	v_add_f64_e32 v[36:37], v[72:73], v[62:63]
	v_add_f64_e32 v[70:71], v[74:75], v[92:93]
	;; [unrolled: 1-line block ×3, first 2 shown]
	v_add_f64_e64 v[74:75], v[92:93], -v[74:75]
	v_add_f64_e64 v[62:63], v[96:97], -v[120:121]
	v_fma_f64 v[134:135], v[68:69], s[22:23], v[60:61]
	v_fma_f64 v[116:117], v[68:69], s[22:23], v[116:117]
	;; [unrolled: 1-line block ×3, first 2 shown]
	v_fma_f64 v[132:133], v[122:123], s[10:11], -v[132:133]
	v_fma_f64 v[122:123], v[122:123], s[14:15], -v[124:125]
	v_mul_f64_e32 v[124:125], s[8:9], v[126:127]
	v_mul_f64_e32 v[126:127], s[0:1], v[80:81]
	v_add_f64_e32 v[142:143], v[78:79], v[98:99]
	v_add_f64_e64 v[38:39], v[64:65], -v[106:107]
	v_add_f64_e32 v[64:65], v[82:83], v[110:111]
	v_add_f64_e64 v[68:69], v[86:87], -v[76:77]
	v_add_f64_e64 v[76:77], v[110:111], -v[82:83]
	v_add_f64_e32 v[82:83], v[120:121], v[96:97]
	v_add_f64_e32 v[60:61], v[118:119], v[88:89]
	;; [unrolled: 1-line block ×3, first 2 shown]
	v_fma_f64 v[80:81], v[80:81], s[0:1], v[124:125]
	v_fma_f64 v[124:125], v[128:129], s[14:15], -v[124:125]
	v_fma_f64 v[126:127], v[128:129], s[10:11], -v[126:127]
	v_fma_f64 v[128:129], v[48:49], s[22:23], v[44:45]
	v_add_f64_e32 v[98:99], v[132:133], v[98:99]
	v_add_f64_e32 v[48:49], v[100:101], v[84:85]
	v_add_f64_e64 v[44:45], v[84:85], -v[100:101]
	v_add_f64_e32 v[84:85], v[116:117], v[142:143]
	v_add_f64_e64 v[104:105], v[142:143], -v[116:117]
	v_add_f64_e64 v[100:101], v[122:123], -v[138:139]
	v_add_f64_e32 v[144:145], v[80:81], v[108:109]
	v_add_f64_e32 v[124:125], v[124:125], v[108:109]
	;; [unrolled: 1-line block ×3, first 2 shown]
	v_add_f64_e64 v[66:67], v[112:113], -v[128:129]
	v_add_f64_e64 v[80:81], v[88:89], -v[118:119]
	v_add_f64_e32 v[88:89], v[138:139], v[122:123]
	v_add_f64_e64 v[92:93], v[98:99], -v[134:135]
	v_add_f64_e32 v[96:97], v[134:135], v[98:99]
	v_add_f64_e32 v[78:79], v[128:129], v[112:113]
	v_add_f64_e64 v[86:87], v[144:145], -v[114:115]
	v_add_f64_e64 v[90:91], v[124:125], -v[136:137]
	v_add_f64_e32 v[94:95], v[130:131], v[108:109]
	v_add_f64_e64 v[98:99], v[108:109], -v[130:131]
	v_add_f64_e32 v[102:103], v[136:137], v[124:125]
	v_add_f64_e32 v[106:107], v[114:115], v[144:145]
	ds_store_b128 v140, v[28:31]
	ds_store_b128 v140, v[32:35] offset:1008
	ds_store_b128 v140, v[24:27] offset:2016
	;; [unrolled: 1-line block ×20, first 2 shown]
	s_and_saveexec_b32 s26, vcc_lo
	s_cbranch_execz .LBB0_9
; %bb.8:
	s_clause 0x5
	scratch_load_b128 v[56:59], off, off offset:1784 th:TH_LOAD_LU
	scratch_load_b128 v[70:73], off, off th:TH_LOAD_LU
	scratch_load_b128 v[60:63], off, off offset:1800 th:TH_LOAD_LU
	scratch_load_b128 v[66:69], off, off offset:1832 th:TH_LOAD_LU
	;; [unrolled: 1-line block ×4, first 2 shown]
	s_wait_loadcnt 0x4
	v_mul_f64_e32 v[24:25], v[58:59], v[70:71]
	s_wait_loadcnt 0x3
	v_mul_f64_e32 v[28:29], v[62:63], v[20:21]
	v_mul_f64_e32 v[38:39], v[62:63], v[22:23]
	scratch_load_b128 v[62:65], off, off offset:1816 th:TH_LOAD_LU ; 16-byte Folded Reload
	s_wait_loadcnt 0x2
	v_mul_f64_e32 v[26:27], v[50:51], v[4:5]
	s_wait_loadcnt 0x1
	v_mul_f64_e32 v[30:31], v[54:55], v[8:9]
	v_mul_f64_e32 v[32:33], v[50:51], v[6:7]
	v_mul_f64_e32 v[34:35], v[58:59], v[72:73]
	v_mul_f64_e32 v[36:37], v[54:55], v[10:11]
	v_mul_f64_e32 v[40:41], v[68:69], v[18:19]
	v_mul_f64_e32 v[46:47], v[68:69], v[16:17]
	v_fma_f64 v[24:25], v[56:57], v[72:73], -v[24:25]
	v_fma_f64 v[22:23], v[60:61], v[22:23], -v[28:29]
	v_fma_f64 v[20:21], v[60:61], v[20:21], v[38:39]
	v_fma_f64 v[6:7], v[48:49], v[6:7], -v[26:27]
	v_fma_f64 v[10:11], v[52:53], v[10:11], -v[30:31]
	v_fma_f64 v[4:5], v[48:49], v[4:5], v[32:33]
	v_fma_f64 v[26:27], v[56:57], v[70:71], v[34:35]
	;; [unrolled: 1-line block ×4, first 2 shown]
	v_fma_f64 v[18:19], v[66:67], v[18:19], -v[46:47]
	v_add_f64_e32 v[28:29], v[6:7], v[24:25]
	v_add_f64_e32 v[30:31], v[10:11], v[22:23]
	v_add_f64_e64 v[10:11], v[10:11], -v[22:23]
	v_add_f64_e32 v[32:33], v[4:5], v[26:27]
	v_add_f64_e32 v[34:35], v[8:9], v[20:21]
	v_add_f64_e64 v[8:9], v[8:9], -v[20:21]
	v_add_f64_e64 v[4:5], v[4:5], -v[26:27]
	;; [unrolled: 1-line block ×3, first 2 shown]
	s_delay_alu instid0(VALU_DEP_2) | instskip(SKIP_3) | instid1(VALU_DEP_2)
	v_add_f64_e64 v[38:39], v[8:9], -v[4:5]
	s_wait_loadcnt 0x0
	v_mul_f64_e32 v[42:43], v[64:65], v[14:15]
	v_mul_f64_e32 v[44:45], v[64:65], v[12:13]
	v_fma_f64 v[12:13], v[62:63], v[12:13], v[42:43]
	s_delay_alu instid0(VALU_DEP_2) | instskip(SKIP_1) | instid1(VALU_DEP_3)
	v_fma_f64 v[14:15], v[62:63], v[14:15], -v[44:45]
	v_add_f64_e64 v[42:43], v[10:11], -v[6:7]
	v_add_f64_e64 v[36:37], v[16:17], -v[12:13]
	s_delay_alu instid0(VALU_DEP_3)
	v_add_f64_e32 v[20:21], v[14:15], v[18:19]
	v_add_f64_e32 v[12:13], v[12:13], v[16:17]
	v_add_f64_e32 v[16:17], v[30:31], v[28:29]
	v_add_f64_e64 v[14:15], v[18:19], -v[14:15]
	v_add_f64_e32 v[18:19], v[34:35], v[32:33]
	v_mul_f64_e32 v[46:47], s[12:13], v[42:43]
	v_add_f64_e64 v[22:23], v[36:37], -v[8:9]
	v_add_f64_e64 v[24:25], v[28:29], -v[20:21]
	;; [unrolled: 1-line block ×3, first 2 shown]
	v_add_f64_e32 v[16:17], v[20:21], v[16:17]
	v_add_f64_e64 v[20:21], v[20:21], -v[30:31]
	v_add_f64_e64 v[40:41], v[14:15], -v[10:11]
	v_add_f64_e32 v[18:19], v[12:13], v[18:19]
	v_add_f64_e64 v[12:13], v[12:13], -v[34:35]
	v_add_f64_e64 v[44:45], v[4:5], -v[36:37]
	v_add_f64_e32 v[8:9], v[36:37], v[8:9]
	v_add_f64_e32 v[10:11], v[14:15], v[10:11]
	v_mul_f64_e32 v[36:37], s[12:13], v[38:39]
	v_add_f64_e64 v[14:15], v[6:7], -v[14:15]
	v_add_f64_e64 v[28:29], v[30:31], -v[28:29]
	;; [unrolled: 1-line block ×3, first 2 shown]
	v_mul_f64_e32 v[22:23], s[16:17], v[22:23]
	v_mul_f64_e32 v[24:25], s[8:9], v[24:25]
	;; [unrolled: 1-line block ×3, first 2 shown]
	v_add_f64_e32 v[2:3], v[2:3], v[16:17]
	v_mul_f64_e32 v[30:31], s[0:1], v[20:21]
	v_mul_f64_e32 v[40:41], s[16:17], v[40:41]
	v_add_f64_e32 v[0:1], v[0:1], v[18:19]
	v_mul_f64_e32 v[34:35], s[0:1], v[12:13]
	v_add_f64_e32 v[4:5], v[8:9], v[4:5]
	v_add_f64_e32 v[6:7], v[10:11], v[6:7]
	v_fma_f64 v[8:9], v[44:45], s[18:19], v[22:23]
	v_fma_f64 v[10:11], v[20:21], s[0:1], v[24:25]
	;; [unrolled: 1-line block ×3, first 2 shown]
	v_fma_f64 v[20:21], v[44:45], s[20:21], -v[36:37]
	v_fma_f64 v[22:23], v[38:39], s[12:13], -v[22:23]
	v_fma_f64 v[16:17], v[16:17], s[24:25], v[2:3]
	v_fma_f64 v[24:25], v[28:29], s[14:15], -v[24:25]
	v_fma_f64 v[28:29], v[28:29], s[10:11], -v[30:31]
	v_fma_f64 v[30:31], v[14:15], s[18:19], v[40:41]
	v_fma_f64 v[18:19], v[18:19], s[24:25], v[0:1]
	v_fma_f64 v[14:15], v[14:15], s[20:21], -v[46:47]
	v_fma_f64 v[26:27], v[32:33], s[14:15], -v[26:27]
	;; [unrolled: 1-line block ×4, first 2 shown]
	v_fma_f64 v[8:9], v[4:5], s[22:23], v[8:9]
	v_fma_f64 v[20:21], v[4:5], s[22:23], v[20:21]
	;; [unrolled: 1-line block ×3, first 2 shown]
	v_add_f64_e32 v[34:35], v[10:11], v[16:17]
	v_add_f64_e32 v[22:23], v[24:25], v[16:17]
	;; [unrolled: 1-line block ×3, first 2 shown]
	v_fma_f64 v[28:29], v[6:7], s[22:23], v[30:31]
	v_add_f64_e32 v[38:39], v[12:13], v[18:19]
	v_fma_f64 v[30:31], v[6:7], s[22:23], v[14:15]
	v_add_f64_e32 v[40:41], v[26:27], v[18:19]
	;; [unrolled: 2-line block ×3, first 2 shown]
	v_add_f64_e64 v[26:27], v[34:35], -v[8:9]
	v_add_f64_e32 v[10:11], v[20:21], v[22:23]
	v_add_f64_e64 v[22:23], v[22:23], -v[20:21]
	v_add_f64_e64 v[14:15], v[16:17], -v[4:5]
	v_add_f64_e32 v[24:25], v[28:29], v[38:39]
	v_add_f64_e32 v[18:19], v[4:5], v[16:17]
	;; [unrolled: 1-line block ×4, first 2 shown]
	v_add_f64_e64 v[16:17], v[12:13], -v[36:37]
	v_add_f64_e32 v[12:13], v[36:37], v[12:13]
	v_add_f64_e64 v[8:9], v[40:41], -v[30:31]
	v_add_f64_e64 v[4:5], v[38:39], -v[28:29]
	ds_store_b128 v140, v[0:3] offset:3024
	ds_store_b128 v140, v[24:27] offset:6912
	;; [unrolled: 1-line block ×7, first 2 shown]
.LBB0_9:
	s_wait_alu 0xfffe
	s_or_b32 exec_lo, exec_lo, s26
	global_wb scope:SCOPE_SE
	s_wait_storecnt_dscnt 0x0
	s_barrier_signal -1
	s_barrier_wait -1
	global_inv scope:SCOPE_SE
	ds_load_b128 v[0:3], v140
	ds_load_b128 v[4:7], v140 offset:9072
	ds_load_b128 v[8:11], v140 offset:18144
	;; [unrolled: 1-line block ×5, first 2 shown]
	s_clause 0x1
	scratch_load_b64 v[24:25], off, off offset:16 th:TH_LOAD_LU
	scratch_load_b128 v[105:108], off, off offset:24 th:TH_LOAD_LU
	ds_load_b128 v[28:31], v140 offset:11088
	v_mad_co_u64_u32 v[94:95], null, s4, v141, 0
	s_mov_b32 s8, 0x9c850ab
	s_mov_b32 s9, 0x3f434393
	s_mul_u64 s[0:1], s[4:5], 0x2370
	s_movk_i32 s10, 0xbd10
	s_mov_b32 s11, -1
	scratch_load_b128 v[119:122], off, off offset:120 th:TH_LOAD_LU ; 16-byte Folded Reload
	ds_load_b128 v[32:35], v140 offset:2016
	s_wait_loadcnt 0x2
	v_mov_b32_e32 v96, v24
	s_wait_loadcnt_dscnt 0x107
	v_mul_f64_e32 v[70:71], v[107:108], v[2:3]
	v_mul_f64_e32 v[72:73], v[107:108], v[0:1]
	scratch_load_b128 v[107:110], off, off offset:40 th:TH_LOAD_LU ; 16-byte Folded Reload
	ds_load_b128 v[24:27], v140 offset:8064
	v_mad_co_u64_u32 v[68:69], null, s6, v96, 0
	s_wait_loadcnt_dscnt 0x103
	v_mul_f64_e32 v[90:91], v[121:122], v[22:23]
	v_mul_f64_e32 v[92:93], v[121:122], v[20:21]
	v_fma_f64 v[0:1], v[105:106], v[0:1], v[70:71]
	v_fma_f64 v[2:3], v[105:106], v[2:3], -v[72:73]
	v_mad_co_u64_u32 v[96:97], null, s7, v96, v[69:70]
	v_fma_f64 v[20:21], v[119:120], v[20:21], v[90:91]
	s_delay_alu instid0(VALU_DEP_2) | instskip(SKIP_2) | instid1(VALU_DEP_2)
	v_mad_co_u64_u32 v[70:71], null, s5, v141, v[95:96]
	v_mov_b32_e32 v69, v96
	v_fma_f64 v[22:23], v[119:120], v[22:23], -v[92:93]
	v_lshlrev_b64_e32 v[68:69], 4, v[68:69]
	s_delay_alu instid0(VALU_DEP_4) | instskip(NEXT) | instid1(VALU_DEP_2)
	v_mov_b32_e32 v95, v70
	v_add_co_u32 v68, vcc_lo, s2, v68
	s_wait_alu 0xfffd
	s_delay_alu instid0(VALU_DEP_3)
	v_add_co_ci_u32_e32 v69, vcc_lo, s3, v69, vcc_lo
	s_wait_alu 0xfffe
	s_mul_u64 s[2:3], s[4:5], s[10:11]
	v_mul_f64_e32 v[0:1], s[8:9], v[0:1]
	v_mul_f64_e32 v[2:3], s[8:9], v[2:3]
	;; [unrolled: 1-line block ×4, first 2 shown]
	s_wait_loadcnt 0x0
	v_mul_f64_e32 v[74:75], v[109:110], v[6:7]
	v_mul_f64_e32 v[76:77], v[109:110], v[4:5]
	scratch_load_b128 v[109:112], off, off offset:56 th:TH_LOAD_LU ; 16-byte Folded Reload
	v_fma_f64 v[4:5], v[107:108], v[4:5], v[74:75]
	v_fma_f64 v[6:7], v[107:108], v[6:7], -v[76:77]
	s_delay_alu instid0(VALU_DEP_2) | instskip(NEXT) | instid1(VALU_DEP_2)
	v_mul_f64_e32 v[4:5], s[8:9], v[4:5]
	v_mul_f64_e32 v[6:7], s[8:9], v[6:7]
	s_wait_loadcnt 0x0
	v_mul_f64_e32 v[78:79], v[111:112], v[10:11]
	v_mul_f64_e32 v[80:81], v[111:112], v[8:9]
	scratch_load_b128 v[111:114], off, off offset:72 th:TH_LOAD_LU ; 16-byte Folded Reload
	v_fma_f64 v[8:9], v[109:110], v[8:9], v[78:79]
	v_fma_f64 v[10:11], v[109:110], v[10:11], -v[80:81]
	s_delay_alu instid0(VALU_DEP_2) | instskip(NEXT) | instid1(VALU_DEP_2)
	v_mul_f64_e32 v[8:9], s[8:9], v[8:9]
	v_mul_f64_e32 v[10:11], s[8:9], v[10:11]
	s_wait_loadcnt 0x0
	v_mul_f64_e32 v[82:83], v[113:114], v[14:15]
	v_mul_f64_e32 v[84:85], v[113:114], v[12:13]
	scratch_load_b128 v[113:116], off, off offset:88 th:TH_LOAD_LU ; 16-byte Folded Reload
	ds_load_b128 v[36:39], v140 offset:3024
	ds_load_b128 v[40:43], v140 offset:20160
	;; [unrolled: 1-line block ×8, first 2 shown]
	s_clause 0x1
	scratch_load_b128 v[121:124], off, off offset:168 th:TH_LOAD_LU
	scratch_load_b128 v[105:108], off, off offset:136 th:TH_LOAD_LU
	v_fma_f64 v[12:13], v[111:112], v[12:13], v[82:83]
	v_fma_f64 v[14:15], v[111:112], v[14:15], -v[84:85]
	s_delay_alu instid0(VALU_DEP_2) | instskip(NEXT) | instid1(VALU_DEP_2)
	v_mul_f64_e32 v[12:13], s[8:9], v[12:13]
	v_mul_f64_e32 v[14:15], s[8:9], v[14:15]
	s_wait_loadcnt 0x2
	v_mul_f64_e32 v[86:87], v[115:116], v[18:19]
	v_mul_f64_e32 v[88:89], v[115:116], v[16:17]
	scratch_load_b128 v[115:118], off, off offset:104 th:TH_LOAD_LU ; 16-byte Folded Reload
	s_wait_loadcnt_dscnt 0x106
	v_mul_f64_e32 v[71:72], v[107:108], v[42:43]
	v_mul_f64_e32 v[73:74], v[107:108], v[40:41]
	scratch_load_b128 v[107:110], off, off offset:152 th:TH_LOAD_LU ; 16-byte Folded Reload
	v_mul_f64_e32 v[101:102], v[123:124], v[30:31]
	v_mul_f64_e32 v[103:104], v[123:124], v[28:29]
	v_fma_f64 v[16:17], v[113:114], v[16:17], v[86:87]
	v_fma_f64 v[18:19], v[113:114], v[18:19], -v[88:89]
	v_lshlrev_b64_e32 v[87:88], 4, v[94:95]
	v_fma_f64 v[40:41], v[105:106], v[40:41], v[71:72]
	v_fma_f64 v[42:43], v[105:106], v[42:43], -v[73:74]
	v_fma_f64 v[89:90], v[121:122], v[30:31], -v[103:104]
	s_delay_alu instid0(VALU_DEP_4) | instskip(SKIP_3) | instid1(VALU_DEP_3)
	v_add_co_u32 v68, vcc_lo, v68, v87
	s_wait_alu 0xfffd
	v_add_co_ci_u32_e32 v69, vcc_lo, v69, v88, vcc_lo
	v_fma_f64 v[87:88], v[121:122], v[28:29], v[101:102]
	v_add_co_u32 v91, vcc_lo, v68, s0
	s_wait_alu 0xfffd
	s_delay_alu instid0(VALU_DEP_3) | instskip(NEXT) | instid1(VALU_DEP_2)
	v_add_co_ci_u32_e32 v92, vcc_lo, s1, v69, vcc_lo
	v_add_co_u32 v93, vcc_lo, v91, s0
	s_wait_alu 0xfffd
	s_delay_alu instid0(VALU_DEP_2) | instskip(SKIP_1) | instid1(VALU_DEP_2)
	v_add_co_ci_u32_e32 v94, vcc_lo, s1, v92, vcc_lo
	s_wait_alu 0xfffe
	v_add_co_u32 v72, vcc_lo, v93, s2
	s_wait_alu 0xfffd
	s_delay_alu instid0(VALU_DEP_2)
	v_add_co_ci_u32_e32 v73, vcc_lo, s3, v94, vcc_lo
	v_mul_f64_e32 v[16:17], s[8:9], v[16:17]
	v_mul_f64_e32 v[18:19], s[8:9], v[18:19]
	s_wait_loadcnt 0x1
	v_mul_f64_e32 v[97:98], v[117:118], v[34:35]
	v_mul_f64_e32 v[99:100], v[117:118], v[32:33]
	s_wait_loadcnt 0x0
	v_mul_f64_e32 v[75:76], v[109:110], v[38:39]
	v_mul_f64_e32 v[77:78], v[109:110], v[36:37]
	scratch_load_b128 v[109:112], off, off offset:264 th:TH_LOAD_LU ; 16-byte Folded Reload
	v_fma_f64 v[32:33], v[115:116], v[32:33], v[97:98]
	scratch_load_b128 v[95:98], off, off offset:392 th:TH_LOAD_LU ; 16-byte Folded Reload
	v_fma_f64 v[34:35], v[115:116], v[34:35], -v[99:100]
	v_fma_f64 v[36:37], v[107:108], v[36:37], v[75:76]
	v_add_co_u32 v76, vcc_lo, v72, s0
	v_fma_f64 v[38:39], v[107:108], v[38:39], -v[77:78]
	s_wait_alu 0xfffd
	v_add_co_ci_u32_e32 v77, vcc_lo, s1, v73, vcc_lo
	v_mul_f64_e32 v[28:29], s[8:9], v[32:33]
	v_mul_f64_e32 v[32:33], s[8:9], v[87:88]
	;; [unrolled: 1-line block ×4, first 2 shown]
	s_wait_loadcnt_dscnt 0x104
	v_mul_f64_e32 v[79:80], v[111:112], v[50:51]
	v_mul_f64_e32 v[81:82], v[111:112], v[48:49]
	scratch_load_b128 v[111:114], off, off offset:296 th:TH_LOAD_LU ; 16-byte Folded Reload
	s_clause 0x2
	global_store_b128 v[68:69], v[0:3], off
	global_store_b128 v[91:92], v[4:7], off
	;; [unrolled: 1-line block ×3, first 2 shown]
	v_add_co_u32 v68, vcc_lo, v76, s0
	v_mul_f64_e32 v[0:1], s[8:9], v[40:41]
	v_mul_f64_e32 v[2:3], s[8:9], v[42:43]
	;; [unrolled: 1-line block ×4, first 2 shown]
	s_wait_alu 0xfffd
	v_add_co_ci_u32_e32 v69, vcc_lo, s1, v77, vcc_lo
	s_wait_loadcnt_dscnt 0x101
	v_mul_f64_e32 v[70:71], v[97:98], v[62:63]
	v_mul_f64_e32 v[74:75], v[97:98], v[60:61]
	v_fma_f64 v[48:49], v[109:110], v[48:49], v[79:80]
	v_fma_f64 v[50:51], v[109:110], v[50:51], -v[81:82]
	s_delay_alu instid0(VALU_DEP_4) | instskip(NEXT) | instid1(VALU_DEP_4)
	v_fma_f64 v[36:37], v[95:96], v[60:61], v[70:71]
	v_fma_f64 v[38:39], v[95:96], v[62:63], -v[74:75]
	s_wait_loadcnt 0x0
	v_mul_f64_e32 v[83:84], v[113:114], v[46:47]
	v_mul_f64_e32 v[85:86], v[113:114], v[44:45]
	s_delay_alu instid0(VALU_DEP_2) | instskip(NEXT) | instid1(VALU_DEP_2)
	v_fma_f64 v[44:45], v[111:112], v[44:45], v[83:84]
	v_fma_f64 v[46:47], v[111:112], v[46:47], -v[85:86]
	scratch_load_b128 v[84:87], off, off offset:408 th:TH_LOAD_LU ; 16-byte Folded Reload
	s_clause 0x1
	global_store_b128 v[72:73], v[12:15], off
	global_store_b128 v[76:77], v[16:19], off
	;; [unrolled: 1-line block ×3, first 2 shown]
	v_mul_f64_e32 v[12:13], s[8:9], v[48:49]
	v_mul_f64_e32 v[14:15], s[8:9], v[50:51]
	v_add_co_u32 v20, vcc_lo, v68, s2
	ds_load_b128 v[4:7], v140 offset:23184
	s_wait_alu 0xfffd
	v_add_co_ci_u32_e32 v21, vcc_lo, s3, v69, vcc_lo
	v_add_co_u32 v22, vcc_lo, v20, s0
	s_wait_alu 0xfffd
	s_delay_alu instid0(VALU_DEP_2)
	v_add_co_ci_u32_e32 v23, vcc_lo, s1, v21, vcc_lo
	global_store_b128 v[20:21], v[28:31], off
	v_add_co_u32 v42, vcc_lo, v22, s0
	s_wait_alu 0xfffd
	v_add_co_ci_u32_e32 v43, vcc_lo, s1, v23, vcc_lo
	global_store_b128 v[22:23], v[32:35], off
	ds_load_b128 v[20:23], v140 offset:14112
	ds_load_b128 v[28:31], v140 offset:6048
	v_add_co_u32 v32, vcc_lo, v42, s2
	s_wait_alu 0xfffd
	v_add_co_ci_u32_e32 v33, vcc_lo, s3, v43, vcc_lo
	s_delay_alu instid0(VALU_DEP_2) | instskip(SKIP_1) | instid1(VALU_DEP_2)
	v_add_co_u32 v34, vcc_lo, v32, s0
	s_wait_alu 0xfffd
	v_add_co_ci_u32_e32 v35, vcc_lo, s1, v33, vcc_lo
	v_mul_f64_e32 v[16:17], s[8:9], v[44:45]
	v_mul_f64_e32 v[18:19], s[8:9], v[46:47]
	s_wait_loadcnt 0x0
	v_mul_f64_e32 v[78:79], v[86:87], v[54:55]
	v_mul_f64_e32 v[80:81], v[86:87], v[52:53]
	scratch_load_b128 v[86:89], off, off offset:424 th:TH_LOAD_LU ; 16-byte Folded Reload
	v_fma_f64 v[44:45], v[84:85], v[52:53], v[78:79]
	v_fma_f64 v[46:47], v[84:85], v[54:55], -v[80:81]
	s_delay_alu instid0(VALU_DEP_2) | instskip(NEXT) | instid1(VALU_DEP_2)
	v_mul_f64_e32 v[44:45], s[8:9], v[44:45]
	v_mul_f64_e32 v[46:47], s[8:9], v[46:47]
	s_wait_loadcnt 0x0
	v_mul_f64_e32 v[40:41], v[88:89], v[58:59]
	v_mul_f64_e32 v[72:73], v[88:89], v[56:57]
	scratch_load_b128 v[88:91], off, off offset:440 th:TH_LOAD_LU ; 16-byte Folded Reload
	v_fma_f64 v[52:53], v[86:87], v[56:57], v[40:41]
	v_add_co_u32 v40, vcc_lo, v34, s0
	v_fma_f64 v[54:55], v[86:87], v[58:59], -v[72:73]
	s_wait_alu 0xfffd
	v_add_co_ci_u32_e32 v41, vcc_lo, s1, v35, vcc_lo
	global_store_b128 v[42:43], v[0:3], off
	global_store_b128 v[32:33], v[8:11], off
	;; [unrolled: 1-line block ×4, first 2 shown]
	v_mul_f64_e32 v[0:1], s[8:9], v[36:37]
	v_mul_f64_e32 v[2:3], s[8:9], v[38:39]
	scratch_load_b128 v[106:109], off, off offset:184 th:TH_LOAD_LU ; 16-byte Folded Reload
	ds_load_b128 v[8:11], v140 offset:15120
	ds_load_b128 v[12:15], v140 offset:24192
	v_add_co_u32 v68, vcc_lo, v40, s2
	s_wait_alu 0xfffd
	v_add_co_ci_u32_e32 v69, vcc_lo, s3, v41, vcc_lo
	v_mul_f64_e32 v[52:53], s[8:9], v[52:53]
	v_mul_f64_e32 v[54:55], s[8:9], v[54:55]
	s_wait_loadcnt_dscnt 0x105
	v_mul_f64_e32 v[76:77], v[90:91], v[66:67]
	v_mul_f64_e32 v[82:83], v[90:91], v[64:65]
	s_delay_alu instid0(VALU_DEP_2) | instskip(NEXT) | instid1(VALU_DEP_2)
	v_fma_f64 v[56:57], v[88:89], v[64:65], v[76:77]
	v_fma_f64 v[58:59], v[88:89], v[66:67], -v[82:83]
	s_wait_loadcnt_dscnt 0x3
	v_mul_f64_e32 v[60:61], v[108:109], v[22:23]
	v_mul_f64_e32 v[62:63], v[108:109], v[20:21]
	scratch_load_b128 v[108:111], off, off offset:200 th:TH_LOAD_LU ; 16-byte Folded Reload
	ds_load_b128 v[16:19], v140 offset:7056
	ds_load_b128 v[32:35], v140 offset:16128
	;; [unrolled: 1-line block ×5, first 2 shown]
	v_mul_f64_e32 v[56:57], s[8:9], v[56:57]
	v_mul_f64_e32 v[58:59], s[8:9], v[58:59]
	v_fma_f64 v[20:21], v[106:107], v[20:21], v[60:61]
	v_fma_f64 v[22:23], v[106:107], v[22:23], -v[62:63]
	v_add_co_u32 v60, vcc_lo, v68, s0
	s_wait_alu 0xfffd
	v_add_co_ci_u32_e32 v61, vcc_lo, s1, v69, vcc_lo
	s_delay_alu instid0(VALU_DEP_2) | instskip(SKIP_1) | instid1(VALU_DEP_2)
	v_add_co_u32 v62, vcc_lo, v60, s0
	s_wait_alu 0xfffd
	v_add_co_ci_u32_e32 v63, vcc_lo, s1, v61, vcc_lo
	s_wait_loadcnt 0x0
	v_mul_f64_e32 v[64:65], v[110:111], v[6:7]
	v_mul_f64_e32 v[66:67], v[110:111], v[4:5]
	scratch_load_b128 v[110:113], off, off offset:216 th:TH_LOAD_LU ; 16-byte Folded Reload
	v_fma_f64 v[4:5], v[108:109], v[4:5], v[64:65]
	v_fma_f64 v[6:7], v[108:109], v[6:7], -v[66:67]
	v_add_co_u32 v64, vcc_lo, v62, s2
	s_wait_alu 0xfffd
	v_add_co_ci_u32_e32 v65, vcc_lo, s3, v63, vcc_lo
	s_delay_alu instid0(VALU_DEP_4) | instskip(NEXT) | instid1(VALU_DEP_4)
	v_mul_f64_e32 v[4:5], s[8:9], v[4:5]
	v_mul_f64_e32 v[6:7], s[8:9], v[6:7]
	s_wait_loadcnt_dscnt 0x7
	v_mul_f64_e32 v[70:71], v[112:113], v[30:31]
	v_mul_f64_e32 v[72:73], v[112:113], v[28:29]
	scratch_load_b128 v[112:115], off, off offset:232 th:TH_LOAD_LU ; 16-byte Folded Reload
	v_fma_f64 v[28:29], v[110:111], v[28:29], v[70:71]
	v_fma_f64 v[30:31], v[110:111], v[30:31], -v[72:73]
	s_wait_loadcnt_dscnt 0x6
	v_mul_f64_e32 v[74:75], v[114:115], v[10:11]
	v_mul_f64_e32 v[76:77], v[114:115], v[8:9]
	scratch_load_b128 v[114:117], off, off offset:248 th:TH_LOAD_LU ; 16-byte Folded Reload
	v_fma_f64 v[66:67], v[112:113], v[8:9], v[74:75]
	v_fma_f64 v[70:71], v[112:113], v[10:11], -v[76:77]
	v_mul_f64_e32 v[8:9], s[8:9], v[28:29]
	v_mul_f64_e32 v[10:11], s[8:9], v[30:31]
	s_wait_loadcnt_dscnt 0x5
	v_mul_f64_e32 v[78:79], v[116:117], v[14:15]
	v_mul_f64_e32 v[80:81], v[116:117], v[12:13]
	scratch_load_b128 v[116:119], off, off offset:280 th:TH_LOAD_LU ; 16-byte Folded Reload
	v_fma_f64 v[72:73], v[114:115], v[12:13], v[78:79]
	v_fma_f64 v[74:75], v[114:115], v[14:15], -v[80:81]
	v_mul_f64_e32 v[12:13], s[8:9], v[66:67]
	v_mul_f64_e32 v[14:15], s[8:9], v[70:71]
	s_wait_loadcnt_dscnt 0x4
	v_mul_f64_e32 v[82:83], v[118:119], v[18:19]
	v_mul_f64_e32 v[84:85], v[118:119], v[16:17]
	scratch_load_b128 v[118:121], off, off offset:312 th:TH_LOAD_LU ; 16-byte Folded Reload
	s_wait_loadcnt_dscnt 0x3
	v_mul_f64_e32 v[86:87], v[120:121], v[34:35]
	v_mul_f64_e32 v[88:89], v[120:121], v[32:33]
	scratch_load_b128 v[120:123], off, off offset:328 th:TH_LOAD_LU ; 16-byte Folded Reload
	v_fma_f64 v[32:33], v[118:119], v[32:33], v[86:87]
	v_fma_f64 v[34:35], v[118:119], v[34:35], -v[88:89]
	s_wait_loadcnt_dscnt 0x2
	v_mul_f64_e32 v[90:91], v[122:123], v[38:39]
	v_mul_f64_e32 v[92:93], v[122:123], v[36:37]
	scratch_load_b128 v[122:125], off, off offset:344 th:TH_LOAD_LU ; 16-byte Folded Reload
	v_fma_f64 v[36:37], v[120:121], v[36:37], v[90:91]
	v_fma_f64 v[38:39], v[120:121], v[38:39], -v[92:93]
	s_delay_alu instid0(VALU_DEP_2) | instskip(NEXT) | instid1(VALU_DEP_2)
	v_mul_f64_e32 v[28:29], s[8:9], v[36:37]
	v_mul_f64_e32 v[30:31], s[8:9], v[38:39]
	s_wait_loadcnt 0x0
	v_mul_f64_e32 v[94:95], v[124:125], v[26:27]
	v_mul_f64_e32 v[96:97], v[124:125], v[24:25]
	scratch_load_b128 v[124:127], off, off offset:360 th:TH_LOAD_LU ; 16-byte Folded Reload
	s_wait_loadcnt_dscnt 0x1
	v_mul_f64_e32 v[98:99], v[126:127], v[42:43]
	v_mul_f64_e32 v[100:101], v[126:127], v[40:41]
	scratch_load_b128 v[126:129], off, off offset:376 th:TH_LOAD_LU ; 16-byte Folded Reload
	global_store_b128 v[68:69], v[0:3], off
	global_store_b128 v[60:61], v[44:47], off
	;; [unrolled: 1-line block ×4, first 2 shown]
	v_fma_f64 v[44:45], v[116:117], v[16:17], v[82:83]
	v_fma_f64 v[46:47], v[116:117], v[18:19], -v[84:85]
	v_fma_f64 v[52:53], v[122:123], v[24:25], v[94:95]
	v_fma_f64 v[54:55], v[122:123], v[26:27], -v[96:97]
	v_mul_f64_e32 v[0:1], s[8:9], v[20:21]
	v_mul_f64_e32 v[2:3], s[8:9], v[22:23]
	v_add_co_u32 v56, vcc_lo, v64, s0
	v_mul_f64_e32 v[16:17], s[8:9], v[72:73]
	v_mul_f64_e32 v[18:19], s[8:9], v[74:75]
	;; [unrolled: 1-line block ×4, first 2 shown]
	s_wait_alu 0xfffd
	v_add_co_ci_u32_e32 v57, vcc_lo, s1, v65, vcc_lo
	v_add_co_u32 v58, vcc_lo, v56, s0
	s_wait_alu 0xfffd
	s_delay_alu instid0(VALU_DEP_2) | instskip(NEXT) | instid1(VALU_DEP_2)
	v_add_co_ci_u32_e32 v59, vcc_lo, s1, v57, vcc_lo
	v_add_co_u32 v60, vcc_lo, v58, s2
	s_wait_alu 0xfffd
	s_delay_alu instid0(VALU_DEP_2) | instskip(NEXT) | instid1(VALU_DEP_2)
	v_add_co_ci_u32_e32 v61, vcc_lo, s3, v59, vcc_lo
	v_add_co_u32 v62, vcc_lo, v60, s0
	s_wait_alu 0xfffd
	s_delay_alu instid0(VALU_DEP_2)
	v_add_co_ci_u32_e32 v63, vcc_lo, s1, v61, vcc_lo
	v_fma_f64 v[40:41], v[124:125], v[40:41], v[98:99]
	v_fma_f64 v[42:43], v[124:125], v[42:43], -v[100:101]
	v_mul_f64_e32 v[20:21], s[8:9], v[44:45]
	v_mul_f64_e32 v[22:23], s[8:9], v[46:47]
	;; [unrolled: 1-line block ×4, first 2 shown]
	v_add_co_u32 v44, vcc_lo, v62, s0
	global_store_b128 v[56:57], v[0:3], off
	global_store_b128 v[58:59], v[4:7], off
	global_store_b128 v[60:61], v[8:11], off
	global_store_b128 v[62:63], v[12:15], off
	s_wait_alu 0xfffd
	v_add_co_ci_u32_e32 v45, vcc_lo, s1, v63, vcc_lo
	v_add_co_u32 v0, vcc_lo, v44, s2
	s_wait_alu 0xfffd
	s_delay_alu instid0(VALU_DEP_2) | instskip(SKIP_4) | instid1(VALU_DEP_2)
	v_add_co_ci_u32_e32 v1, vcc_lo, s3, v45, vcc_lo
	global_store_b128 v[44:45], v[16:19], off
	v_add_co_u32 v2, vcc_lo, v0, s0
	s_wait_alu 0xfffd
	v_add_co_ci_u32_e32 v3, vcc_lo, s1, v1, vcc_lo
	v_add_co_u32 v4, vcc_lo, v2, s0
	s_wait_alu 0xfffd
	s_delay_alu instid0(VALU_DEP_2) | instskip(NEXT) | instid1(VALU_DEP_2)
	v_add_co_ci_u32_e32 v5, vcc_lo, s1, v3, vcc_lo
	v_add_co_u32 v6, vcc_lo, v4, s2
	s_wait_alu 0xfffd
	s_delay_alu instid0(VALU_DEP_2) | instskip(NEXT) | instid1(VALU_DEP_2)
	v_add_co_ci_u32_e32 v7, vcc_lo, s3, v5, vcc_lo
	v_add_co_u32 v8, vcc_lo, v6, s0
	s_wait_alu 0xfffd
	s_delay_alu instid0(VALU_DEP_2)
	v_add_co_ci_u32_e32 v9, vcc_lo, s1, v7, vcc_lo
	v_mul_f64_e32 v[36:37], s[8:9], v[40:41]
	v_mul_f64_e32 v[38:39], s[8:9], v[42:43]
	global_store_b128 v[0:1], v[20:23], off
	v_add_co_u32 v0, vcc_lo, v8, s0
	s_wait_alu 0xfffd
	v_add_co_ci_u32_e32 v1, vcc_lo, s1, v9, vcc_lo
	s_wait_loadcnt_dscnt 0x0
	v_mul_f64_e32 v[102:103], v[128:129], v[50:51]
	v_mul_f64_e32 v[104:105], v[128:129], v[48:49]
	s_delay_alu instid0(VALU_DEP_2) | instskip(NEXT) | instid1(VALU_DEP_2)
	v_fma_f64 v[48:49], v[126:127], v[48:49], v[102:103]
	v_fma_f64 v[50:51], v[126:127], v[50:51], -v[104:105]
	s_delay_alu instid0(VALU_DEP_2) | instskip(NEXT) | instid1(VALU_DEP_2)
	v_mul_f64_e32 v[40:41], s[8:9], v[48:49]
	v_mul_f64_e32 v[42:43], s[8:9], v[50:51]
	global_store_b128 v[2:3], v[24:27], off
	global_store_b128 v[4:5], v[28:31], off
	;; [unrolled: 1-line block ×5, first 2 shown]
.LBB0_10:
	s_nop 0
	s_sendmsg sendmsg(MSG_DEALLOC_VGPRS)
	s_endpgm
	.section	.rodata,"a",@progbits
	.p2align	6, 0x0
	.amdhsa_kernel bluestein_single_back_len1701_dim1_dp_op_CI_CI
		.amdhsa_group_segment_fixed_size 27216
		.amdhsa_private_segment_fixed_size 1852
		.amdhsa_kernarg_size 104
		.amdhsa_user_sgpr_count 2
		.amdhsa_user_sgpr_dispatch_ptr 0
		.amdhsa_user_sgpr_queue_ptr 0
		.amdhsa_user_sgpr_kernarg_segment_ptr 1
		.amdhsa_user_sgpr_dispatch_id 0
		.amdhsa_user_sgpr_private_segment_size 0
		.amdhsa_wavefront_size32 1
		.amdhsa_uses_dynamic_stack 0
		.amdhsa_enable_private_segment 1
		.amdhsa_system_sgpr_workgroup_id_x 1
		.amdhsa_system_sgpr_workgroup_id_y 0
		.amdhsa_system_sgpr_workgroup_id_z 0
		.amdhsa_system_sgpr_workgroup_info 0
		.amdhsa_system_vgpr_workitem_id 0
		.amdhsa_next_free_vgpr 256
		.amdhsa_next_free_sgpr 28
		.amdhsa_reserve_vcc 1
		.amdhsa_float_round_mode_32 0
		.amdhsa_float_round_mode_16_64 0
		.amdhsa_float_denorm_mode_32 3
		.amdhsa_float_denorm_mode_16_64 3
		.amdhsa_fp16_overflow 0
		.amdhsa_workgroup_processor_mode 1
		.amdhsa_memory_ordered 1
		.amdhsa_forward_progress 0
		.amdhsa_round_robin_scheduling 0
		.amdhsa_exception_fp_ieee_invalid_op 0
		.amdhsa_exception_fp_denorm_src 0
		.amdhsa_exception_fp_ieee_div_zero 0
		.amdhsa_exception_fp_ieee_overflow 0
		.amdhsa_exception_fp_ieee_underflow 0
		.amdhsa_exception_fp_ieee_inexact 0
		.amdhsa_exception_int_div_zero 0
	.end_amdhsa_kernel
	.text
.Lfunc_end0:
	.size	bluestein_single_back_len1701_dim1_dp_op_CI_CI, .Lfunc_end0-bluestein_single_back_len1701_dim1_dp_op_CI_CI
                                        ; -- End function
	.section	.AMDGPU.csdata,"",@progbits
; Kernel info:
; codeLenInByte = 40380
; NumSgprs: 30
; NumVgprs: 256
; ScratchSize: 1852
; MemoryBound: 0
; FloatMode: 240
; IeeeMode: 1
; LDSByteSize: 27216 bytes/workgroup (compile time only)
; SGPRBlocks: 3
; VGPRBlocks: 31
; NumSGPRsForWavesPerEU: 30
; NumVGPRsForWavesPerEU: 256
; Occupancy: 2
; WaveLimiterHint : 1
; COMPUTE_PGM_RSRC2:SCRATCH_EN: 1
; COMPUTE_PGM_RSRC2:USER_SGPR: 2
; COMPUTE_PGM_RSRC2:TRAP_HANDLER: 0
; COMPUTE_PGM_RSRC2:TGID_X_EN: 1
; COMPUTE_PGM_RSRC2:TGID_Y_EN: 0
; COMPUTE_PGM_RSRC2:TGID_Z_EN: 0
; COMPUTE_PGM_RSRC2:TIDIG_COMP_CNT: 0
	.text
	.p2alignl 7, 3214868480
	.fill 96, 4, 3214868480
	.type	__hip_cuid_9ac9692d07a04526,@object ; @__hip_cuid_9ac9692d07a04526
	.section	.bss,"aw",@nobits
	.globl	__hip_cuid_9ac9692d07a04526
__hip_cuid_9ac9692d07a04526:
	.byte	0                               ; 0x0
	.size	__hip_cuid_9ac9692d07a04526, 1

	.ident	"AMD clang version 19.0.0git (https://github.com/RadeonOpenCompute/llvm-project roc-6.4.0 25133 c7fe45cf4b819c5991fe208aaa96edf142730f1d)"
	.section	".note.GNU-stack","",@progbits
	.addrsig
	.addrsig_sym __hip_cuid_9ac9692d07a04526
	.amdgpu_metadata
---
amdhsa.kernels:
  - .args:
      - .actual_access:  read_only
        .address_space:  global
        .offset:         0
        .size:           8
        .value_kind:     global_buffer
      - .actual_access:  read_only
        .address_space:  global
        .offset:         8
        .size:           8
        .value_kind:     global_buffer
      - .actual_access:  read_only
        .address_space:  global
        .offset:         16
        .size:           8
        .value_kind:     global_buffer
      - .actual_access:  read_only
        .address_space:  global
        .offset:         24
        .size:           8
        .value_kind:     global_buffer
      - .actual_access:  read_only
        .address_space:  global
        .offset:         32
        .size:           8
        .value_kind:     global_buffer
      - .offset:         40
        .size:           8
        .value_kind:     by_value
      - .address_space:  global
        .offset:         48
        .size:           8
        .value_kind:     global_buffer
      - .address_space:  global
        .offset:         56
        .size:           8
        .value_kind:     global_buffer
      - .address_space:  global
        .offset:         64
        .size:           8
        .value_kind:     global_buffer
      - .address_space:  global
        .offset:         72
        .size:           8
        .value_kind:     global_buffer
      - .offset:         80
        .size:           4
        .value_kind:     by_value
      - .address_space:  global
        .offset:         88
        .size:           8
        .value_kind:     global_buffer
      - .address_space:  global
        .offset:         96
        .size:           8
        .value_kind:     global_buffer
    .group_segment_fixed_size: 27216
    .kernarg_segment_align: 8
    .kernarg_segment_size: 104
    .language:       OpenCL C
    .language_version:
      - 2
      - 0
    .max_flat_workgroup_size: 63
    .name:           bluestein_single_back_len1701_dim1_dp_op_CI_CI
    .private_segment_fixed_size: 1852
    .sgpr_count:     30
    .sgpr_spill_count: 0
    .symbol:         bluestein_single_back_len1701_dim1_dp_op_CI_CI.kd
    .uniform_work_group_size: 1
    .uses_dynamic_stack: false
    .vgpr_count:     256
    .vgpr_spill_count: 466
    .wavefront_size: 32
    .workgroup_processor_mode: 1
amdhsa.target:   amdgcn-amd-amdhsa--gfx1201
amdhsa.version:
  - 1
  - 2
...

	.end_amdgpu_metadata
